;; amdgpu-corpus repo=ROCm/rocSPARSE kind=compiled arch=gfx1100 opt=O3
	.text
	.amdgcn_target "amdgcn-amd-amdhsa--gfx1100"
	.amdhsa_code_object_version 6
	.section	.text._ZN9rocsparseL30bellmm_general_blockdim_kernelILi32ELi32EiiiiiEEv20rocsparse_operation_S1_20rocsparse_direction_T2_S3_NS_24const_host_device_scalarIT1_EES3_S3_PKS3_PKT3_PKT4_l16rocsparse_order_S6_PT5_lSF_21rocsparse_index_base_b,"axG",@progbits,_ZN9rocsparseL30bellmm_general_blockdim_kernelILi32ELi32EiiiiiEEv20rocsparse_operation_S1_20rocsparse_direction_T2_S3_NS_24const_host_device_scalarIT1_EES3_S3_PKS3_PKT3_PKT4_l16rocsparse_order_S6_PT5_lSF_21rocsparse_index_base_b,comdat
	.globl	_ZN9rocsparseL30bellmm_general_blockdim_kernelILi32ELi32EiiiiiEEv20rocsparse_operation_S1_20rocsparse_direction_T2_S3_NS_24const_host_device_scalarIT1_EES3_S3_PKS3_PKT3_PKT4_l16rocsparse_order_S6_PT5_lSF_21rocsparse_index_base_b ; -- Begin function _ZN9rocsparseL30bellmm_general_blockdim_kernelILi32ELi32EiiiiiEEv20rocsparse_operation_S1_20rocsparse_direction_T2_S3_NS_24const_host_device_scalarIT1_EES3_S3_PKS3_PKT3_PKT4_l16rocsparse_order_S6_PT5_lSF_21rocsparse_index_base_b
	.p2align	8
	.type	_ZN9rocsparseL30bellmm_general_blockdim_kernelILi32ELi32EiiiiiEEv20rocsparse_operation_S1_20rocsparse_direction_T2_S3_NS_24const_host_device_scalarIT1_EES3_S3_PKS3_PKT3_PKT4_l16rocsparse_order_S6_PT5_lSF_21rocsparse_index_base_b,@function
_ZN9rocsparseL30bellmm_general_blockdim_kernelILi32ELi32EiiiiiEEv20rocsparse_operation_S1_20rocsparse_direction_T2_S3_NS_24const_host_device_scalarIT1_EES3_S3_PKS3_PKT3_PKT4_l16rocsparse_order_S6_PT5_lSF_21rocsparse_index_base_b: ; @_ZN9rocsparseL30bellmm_general_blockdim_kernelILi32ELi32EiiiiiEEv20rocsparse_operation_S1_20rocsparse_direction_T2_S3_NS_24const_host_device_scalarIT1_EES3_S3_PKS3_PKT3_PKT4_l16rocsparse_order_S6_PT5_lSF_21rocsparse_index_base_b
; %bb.0:
	s_clause 0x1
	s_load_b128 s[16:19], s[0:1], 0x68
	s_load_b64 s[4:5], s[0:1], 0x18
	s_mov_b32 s7, -1
                                        ; implicit-def: $sgpr12
	s_waitcnt lgkmcnt(0)
	s_bitcmp1_b32 s18, 0
	s_cselect_b32 s2, -1, 0
	s_delay_alu instid0(SALU_CYCLE_1) | instskip(NEXT) | instid1(SALU_CYCLE_1)
	s_xor_b32 s6, s2, -1
	s_and_b32 vcc_lo, exec_lo, s6
	s_cbranch_vccnz .LBB0_4
; %bb.1:
	s_load_b64 s[2:3], s[0:1], 0x50
	s_and_not1_b32 vcc_lo, exec_lo, s7
	s_cbranch_vccz .LBB0_5
.LBB0_2:
	s_and_b32 vcc_lo, exec_lo, s6
	s_cbranch_vccz .LBB0_6
.LBB0_3:
	s_waitcnt lgkmcnt(0)
	s_load_b32 s13, s[2:3], 0x0
	s_cbranch_execz .LBB0_7
	s_branch .LBB0_8
.LBB0_4:
	s_load_b32 s12, s[4:5], 0x0
	s_load_b64 s[2:3], s[0:1], 0x50
	s_cbranch_execnz .LBB0_2
.LBB0_5:
	s_waitcnt lgkmcnt(0)
	s_mov_b32 s12, s4
	s_and_b32 vcc_lo, exec_lo, s6
	s_cbranch_vccnz .LBB0_3
.LBB0_6:
	s_waitcnt lgkmcnt(0)
                                        ; implicit-def: $sgpr13
.LBB0_7:
	s_waitcnt lgkmcnt(0)
	s_mov_b32 s13, s2
.LBB0_8:
	s_cmp_eq_u32 s12, 0
	s_mov_b32 s18, 0
	s_cselect_b32 s2, -1, 0
	s_waitcnt lgkmcnt(0)
	s_cmp_eq_u32 s13, 1
	s_cselect_b32 s3, -1, 0
	s_delay_alu instid0(SALU_CYCLE_1) | instskip(NEXT) | instid1(SALU_CYCLE_1)
	s_and_b32 s2, s2, s3
	s_and_b32 vcc_lo, exec_lo, s2
	s_cbranch_vccnz .LBB0_50
; %bb.9:
	s_clause 0x1
	s_load_b128 s[20:23], s[0:1], 0x4
	s_load_b64 s[2:3], s[0:1], 0x20
	s_waitcnt lgkmcnt(0)
	s_cmp_lt_i32 s14, s22
	s_cselect_b32 s28, -1, 0
	s_cmp_ge_i32 s14, s22
	s_cbranch_scc1 .LBB0_11
; %bb.10:
	s_abs_i32 s4, s3
	s_abs_i32 s7, s2
	v_cvt_f32_u32_e32 v1, s4
	s_sub_i32 s6, 0, s4
	s_xor_b32 s2, s2, s3
	s_delay_alu instid0(SALU_CYCLE_1) | instskip(NEXT) | instid1(VALU_DEP_1)
	s_ashr_i32 s2, s2, 31
	v_rcp_iflag_f32_e32 v1, v1
	s_waitcnt_depctr 0xfff
	v_mul_f32_e32 v1, 0x4f7ffffe, v1
	s_delay_alu instid0(VALU_DEP_1) | instskip(NEXT) | instid1(VALU_DEP_1)
	v_cvt_u32_f32_e32 v1, v1
	v_readfirstlane_b32 s5, v1
	s_delay_alu instid0(VALU_DEP_1) | instskip(NEXT) | instid1(SALU_CYCLE_1)
	s_mul_i32 s6, s6, s5
	s_mul_hi_u32 s6, s5, s6
	s_delay_alu instid0(SALU_CYCLE_1) | instskip(NEXT) | instid1(SALU_CYCLE_1)
	s_add_i32 s5, s5, s6
	s_mul_hi_u32 s5, s7, s5
	s_delay_alu instid0(SALU_CYCLE_1) | instskip(NEXT) | instid1(SALU_CYCLE_1)
	s_mul_i32 s6, s5, s4
	s_sub_i32 s6, s7, s6
	s_add_i32 s7, s5, 1
	s_sub_i32 s8, s6, s4
	s_cmp_ge_u32 s6, s4
	s_cselect_b32 s5, s7, s5
	s_cselect_b32 s6, s8, s6
	s_add_i32 s7, s5, 1
	s_cmp_ge_u32 s6, s4
	s_cselect_b32 s4, s7, s5
	s_delay_alu instid0(SALU_CYCLE_1) | instskip(NEXT) | instid1(SALU_CYCLE_1)
	s_xor_b32 s4, s4, s2
	s_sub_i32 s18, s4, s2
.LBB0_11:
	s_cmp_lt_i32 s3, 1
	s_cbranch_scc1 .LBB0_50
; %bb.12:
	s_load_b256 s[4:11], s[0:1], 0x28
	v_bfe_u32 v1, v0, 10, 10
	v_and_b32_e32 v0, 0x3ff, v0
	s_clause 0x1
	s_load_b32 s29, s[0:1], 0x48
	s_load_b128 s[24:27], s[0:1], 0x58
	s_cmp_gt_i32 s18, 0
	s_mul_i32 s2, s14, s3
	v_lshl_add_u32 v2, s15, 5, v1
	v_lshlrev_b32_e32 v4, 5, v1
	s_cselect_b32 s19, -1, 0
	s_cmpk_eq_i32 s20, 0x6f
	v_lshlrev_b32_e32 v19, 2, v0
	v_ashrrev_i32_e32 v3, 31, v2
	v_add_lshl_u32 v13, v4, v0, 2
	s_cselect_b32 s1, -1, 0
	v_cmp_gt_i32_e64 s0, s23, v2
	v_lshl_add_u32 v20, v1, 7, 0x1000
	v_lshlrev_b64 v[8:9], 2, v[2:3]
	v_add_nc_u32_e32 v14, 0x1000, v13
	s_mov_b32 s15, 0
	s_waitcnt lgkmcnt(0)
	v_mul_lo_u32 v4, v3, s10
	v_mul_lo_u32 v5, v2, s11
	v_mad_u64_u32 v[6:7], null, v2, s10, 0
	s_cmp_lg_u32 s29, 1
	v_mul_lo_u32 v10, v3, s26
	v_mul_lo_u32 v11, v2, s27
	v_add_co_u32 v15, vcc_lo, s8, v8
	v_add_nc_u32_e32 v8, s2, v0
	v_add3_u32 v7, v7, v5, v4
	v_mad_u64_u32 v[4:5], null, v2, s26, 0
	s_cselect_b32 s23, -1, 0
	s_cmp_lg_u32 s21, 0
	s_delay_alu instid0(VALU_DEP_2) | instskip(SKIP_3) | instid1(VALU_DEP_3)
	v_lshlrev_b64 v[6:7], 2, v[6:7]
	v_add_co_ci_u32_e32 v16, vcc_lo, s9, v9, vcc_lo
	s_cselect_b32 s20, -1, 0
	s_cmp_lg_u32 s16, 1
	v_add3_u32 v5, v5, v11, v10
	s_delay_alu instid0(VALU_DEP_3)
	v_add_co_u32 v17, vcc_lo, s8, v6
	v_add_co_ci_u32_e32 v18, vcc_lo, s9, v7, vcc_lo
	v_mad_u64_u32 v[6:7], null, s3, v8, v[1:2]
	v_mov_b32_e32 v8, 0
	s_cselect_b32 s8, -1, 0
	s_and_b32 s9, s28, s0
	s_cmp_lg_u32 s13, 0
	v_add_nc_u32_e32 v21, 0x400, v19
	v_add_nc_u32_e32 v22, 0x800, v19
	v_add_nc_u32_e32 v23, 0xc00, v19
	s_cselect_b32 s16, -1, 0
	s_xor_b32 s1, s1, s23
	s_mul_i32 s28, s3, s3
	s_xor_b32 s21, s1, -1
	s_lshl_b32 s23, s3, 5
	s_mul_i32 s28, s28, s22
	s_branch .LBB0_14
.LBB0_13:                               ;   in Loop: Header=BB0_14 Depth=1
	s_or_b32 exec_lo, exec_lo, s1
	v_add_nc_u32_e32 v6, s23, v6
	s_add_i32 s15, s15, 32
	s_delay_alu instid0(SALU_CYCLE_1)
	s_cmp_lt_i32 s15, s3
	s_cbranch_scc0 .LBB0_50
.LBB0_14:                               ; =>This Loop Header: Depth=1
                                        ;     Child Loop BB0_17 Depth 2
                                        ;       Child Loop BB0_19 Depth 3
	v_dual_mov_b32 v24, v8 :: v_dual_add_nc_u32 v9, s15, v0
	s_and_not1_b32 vcc_lo, exec_lo, s19
	s_delay_alu instid0(VALU_DEP_1)
	v_cmp_gt_i32_e64 s1, s3, v9
	s_cbranch_vccnz .LBB0_41
; %bb.15:                               ;   in Loop: Header=BB0_14 Depth=1
	v_dual_mov_b32 v24, 0 :: v_dual_mov_b32 v25, v6
	s_mov_b32 s29, 0
	s_branch .LBB0_17
.LBB0_16:                               ;   in Loop: Header=BB0_17 Depth=2
	v_add_nc_u32_e32 v25, s28, v25
	s_add_i32 s29, s29, 1
	s_delay_alu instid0(SALU_CYCLE_1)
	s_cmp_eq_u32 s29, s18
	s_cbranch_scc1 .LBB0_41
.LBB0_17:                               ;   Parent Loop BB0_14 Depth=1
                                        ; =>  This Loop Header: Depth=2
                                        ;       Child Loop BB0_19 Depth 3
	s_mul_i32 s30, s29, s22
	s_mov_b32 s33, 0
	s_add_i32 s34, s30, s14
	s_delay_alu instid0(SALU_CYCLE_1) | instskip(NEXT) | instid1(SALU_CYCLE_1)
	s_ashr_i32 s35, s34, 31
	s_lshl_b64 s[30:31], s[34:35], 2
	s_delay_alu instid0(SALU_CYCLE_1)
	s_add_u32 s30, s4, s30
	s_addc_u32 s31, s5, s31
	s_load_b32 s30, s[30:31], 0x0
	s_mul_i32 s31, s34, s3
	s_waitcnt lgkmcnt(0)
	s_sub_i32 s30, s30, s17
	s_delay_alu instid0(SALU_CYCLE_1)
	v_mad_u64_u32 v[10:11], null, s30, s3, v[0:1]
	s_cmp_gt_i32 s30, -1
	s_cselect_b32 s30, -1, 0
	s_branch .LBB0_19
.LBB0_18:                               ;   in Loop: Header=BB0_19 Depth=3
	s_add_i32 s33, s33, 32
	s_delay_alu instid0(SALU_CYCLE_1)
	s_cmp_ge_i32 s33, s3
	s_barrier
	buffer_gl0_inv
	s_cbranch_scc1 .LBB0_16
.LBB0_19:                               ;   Parent Loop BB0_14 Depth=1
                                        ;     Parent Loop BB0_17 Depth=2
                                        ; =>    This Inner Loop Header: Depth=3
	v_add_nc_u32_e32 v7, s33, v0
	s_delay_alu instid0(VALU_DEP_1)
	v_cmp_gt_i32_e32 vcc_lo, s3, v7
	s_and_b32 s34, s0, vcc_lo
	s_and_b32 vcc_lo, exec_lo, s21
	s_and_b32 s36, s34, s30
	s_cbranch_vccz .LBB0_23
; %bb.20:                               ;   in Loop: Header=BB0_19 Depth=3
	s_mov_b32 s35, 0
	s_mov_b32 s34, 0
                                        ; implicit-def: $vgpr11_vgpr12
	s_and_saveexec_b32 s37, s36
	s_delay_alu instid0(SALU_CYCLE_1)
	s_xor_b32 s37, exec_lo, s37
; %bb.21:                               ;   in Loop: Header=BB0_19 Depth=3
	v_add_nc_u32_e32 v28, s33, v10
	s_mov_b32 s34, exec_lo
	s_delay_alu instid0(VALU_DEP_1) | instskip(NEXT) | instid1(VALU_DEP_1)
	v_mad_u64_u32 v[11:12], null, v28, s10, 0
	v_mov_b32_e32 v7, v12
	s_delay_alu instid0(VALU_DEP_1) | instskip(NEXT) | instid1(VALU_DEP_1)
	v_mad_u64_u32 v[26:27], null, v28, s11, v[7:8]
	v_mov_b32_e32 v12, v26
	s_delay_alu instid0(VALU_DEP_1) | instskip(NEXT) | instid1(VALU_DEP_1)
	v_lshlrev_b64 v[11:12], 2, v[11:12]
	v_add_co_u32 v11, vcc_lo, v15, v11
	s_delay_alu instid0(VALU_DEP_2)
	v_add_co_ci_u32_e32 v12, vcc_lo, v16, v12, vcc_lo
; %bb.22:                               ;   in Loop: Header=BB0_19 Depth=3
	s_or_b32 exec_lo, exec_lo, s37
	s_delay_alu instid0(SALU_CYCLE_1)
	s_and_b32 vcc_lo, exec_lo, s35
	s_cbranch_vccnz .LBB0_24
	s_branch .LBB0_27
.LBB0_23:                               ;   in Loop: Header=BB0_19 Depth=3
	s_mov_b32 s35, -1
	s_mov_b32 s34, 0
                                        ; implicit-def: $vgpr11_vgpr12
	s_cbranch_execz .LBB0_27
.LBB0_24:                               ;   in Loop: Header=BB0_19 Depth=3
                                        ; implicit-def: $vgpr11_vgpr12
	s_and_saveexec_b32 s35, s36
; %bb.25:                               ;   in Loop: Header=BB0_19 Depth=3
	v_add_nc_u32_e32 v7, s33, v10
	s_or_b32 s34, s34, exec_lo
	s_delay_alu instid0(VALU_DEP_1) | instskip(NEXT) | instid1(VALU_DEP_1)
	v_lshlrev_b64 v[11:12], 2, v[7:8]
	v_add_co_u32 v11, vcc_lo, v17, v11
	s_delay_alu instid0(VALU_DEP_2)
	v_add_co_ci_u32_e32 v12, vcc_lo, v18, v12, vcc_lo
; %bb.26:                               ;   in Loop: Header=BB0_19 Depth=3
	s_or_b32 exec_lo, exec_lo, s35
	s_mov_b32 s35, 0
.LBB0_27:                               ;   in Loop: Header=BB0_19 Depth=3
	s_delay_alu instid0(SALU_CYCLE_1)
	v_mov_b32_e32 v26, s35
	s_and_saveexec_b32 s35, s34
	s_cbranch_execz .LBB0_29
; %bb.28:                               ;   in Loop: Header=BB0_19 Depth=3
	global_load_b32 v26, v[11:12], off
.LBB0_29:                               ;   in Loop: Header=BB0_19 Depth=3
	s_or_b32 exec_lo, exec_lo, s35
	v_add_nc_u32_e32 v7, s33, v1
	s_waitcnt vmcnt(0)
	ds_store_b32 v14, v26
	v_cmp_gt_i32_e32 vcc_lo, s3, v7
	s_and_b32 s34, s1, vcc_lo
	s_and_b32 vcc_lo, exec_lo, s20
	s_and_b32 s36, s34, s30
	s_cbranch_vccz .LBB0_37
; %bb.30:                               ;   in Loop: Header=BB0_19 Depth=3
	s_mov_b32 s35, 0
	s_mov_b32 s34, 0
                                        ; implicit-def: $vgpr11
	s_and_saveexec_b32 s37, s36
	s_delay_alu instid0(SALU_CYCLE_1)
	s_xor_b32 s37, exec_lo, s37
; %bb.31:                               ;   in Loop: Header=BB0_19 Depth=3
	v_add_nc_u32_e32 v7, s31, v7
	s_mov_b32 s34, exec_lo
	s_delay_alu instid0(VALU_DEP_1)
	v_mad_u64_u32 v[11:12], null, v7, s3, v[9:10]
; %bb.32:                               ;   in Loop: Header=BB0_19 Depth=3
	s_or_b32 exec_lo, exec_lo, s37
	s_delay_alu instid0(SALU_CYCLE_1)
	s_and_b32 vcc_lo, exec_lo, s35
	s_cbranch_vccnz .LBB0_38
.LBB0_33:                               ;   in Loop: Header=BB0_19 Depth=3
	v_mov_b32_e32 v7, s35
	s_and_saveexec_b32 s35, s34
	s_cbranch_execz .LBB0_35
.LBB0_34:                               ;   in Loop: Header=BB0_19 Depth=3
	s_delay_alu instid0(VALU_DEP_2) | instskip(NEXT) | instid1(VALU_DEP_1)
	v_ashrrev_i32_e32 v12, 31, v11
	v_lshlrev_b64 v[11:12], 2, v[11:12]
	s_delay_alu instid0(VALU_DEP_1) | instskip(NEXT) | instid1(VALU_DEP_2)
	v_add_co_u32 v11, vcc_lo, s6, v11
	v_add_co_ci_u32_e32 v12, vcc_lo, s7, v12, vcc_lo
	global_load_b32 v7, v[11:12], off
.LBB0_35:                               ;   in Loop: Header=BB0_19 Depth=3
	s_or_b32 exec_lo, exec_lo, s35
	s_delay_alu instid0(SALU_CYCLE_1)
	s_and_not1_b32 vcc_lo, exec_lo, s30
	s_waitcnt vmcnt(0)
	ds_store_b32 v13, v7
	s_waitcnt lgkmcnt(0)
	s_waitcnt_vscnt null, 0x0
	s_barrier
	buffer_gl0_inv
	s_cbranch_vccnz .LBB0_18
; %bb.36:                               ;   in Loop: Header=BB0_19 Depth=3
	ds_load_2addr_b32 v[11:12], v19 offset0:64 offset1:96
	ds_load_b128 v[26:29], v20
	ds_load_2addr_b32 v[57:58], v19 offset1:32
	ds_load_b128 v[30:33], v20 offset:16
	ds_load_2addr_b32 v[46:47], v19 offset0:192 offset1:224
	ds_load_2addr_b32 v[59:60], v19 offset0:128 offset1:160
	;; [unrolled: 1-line block ×3, first 2 shown]
	ds_load_b128 v[34:37], v20 offset:32
	ds_load_2addr_b32 v[61:62], v21 offset1:32
	ds_load_b128 v[38:41], v20 offset:48
	ds_load_2addr_b32 v[52:53], v21 offset0:192 offset1:224
	ds_load_2addr_b32 v[63:64], v21 offset0:128 offset1:160
	ds_load_2addr_b32 v[54:55], v22 offset0:64 offset1:96
	ds_load_b128 v[42:45], v20 offset:64
	ds_load_2addr_b32 v[65:66], v22 offset1:32
	s_waitcnt lgkmcnt(13)
	v_mul_lo_u32 v69, v28, v11
	v_mul_lo_u32 v7, v29, v12
	s_waitcnt lgkmcnt(12)
	v_mul_lo_u32 v70, v26, v57
	s_waitcnt lgkmcnt(10)
	v_mul_lo_u32 v71, v32, v46
	v_mul_lo_u32 v11, v33, v47
	ds_load_2addr_b32 v[28:29], v22 offset0:192 offset1:224
	ds_load_b128 v[46:49], v20 offset:80
	ds_load_2addr_b32 v[32:33], v22 offset0:128 offset1:160
	s_waitcnt lgkmcnt(12)
	v_mul_lo_u32 v72, v30, v59
	s_waitcnt lgkmcnt(10)
	v_mul_lo_u32 v73, v36, v50
	;; [unrolled: 2-line block ×3, first 2 shown]
	v_mul_lo_u32 v12, v37, v51
	s_waitcnt lgkmcnt(7)
	v_mul_lo_u32 v61, v40, v52
	s_waitcnt lgkmcnt(6)
	v_mul_lo_u32 v38, v38, v63
	v_mul_lo_u32 v26, v41, v53
	s_waitcnt lgkmcnt(4)
	v_mul_lo_u32 v63, v44, v54
	v_mul_lo_u32 v30, v45, v55
	ds_load_2addr_b32 v[36:37], v23 offset1:32
	ds_load_2addr_b32 v[40:41], v23 offset0:64 offset1:96
	ds_load_b128 v[50:53], v20 offset:96
	ds_load_2addr_b32 v[44:45], v23 offset0:192 offset1:224
	ds_load_b128 v[54:57], v20 offset:112
	v_mad_u64_u32 v[67:68], null, v27, v58, v[7:8]
	v_mad_u64_u32 v[58:59], null, v31, v60, v[11:12]
	s_waitcnt lgkmcnt(8)
	v_mul_lo_u32 v42, v42, v65
	s_waitcnt lgkmcnt(6)
	v_mul_lo_u32 v48, v48, v28
	v_mad_u64_u32 v[27:28], null, v35, v62, v[12:13]
	ds_load_2addr_b32 v[11:12], v23 offset0:128 offset1:160
	v_mul_lo_u32 v7, v49, v29
	s_waitcnt lgkmcnt(6)
	v_mul_lo_u32 v46, v46, v32
	v_add3_u32 v35, v70, v69, v67
	v_add3_u32 v49, v72, v71, v58
	v_mad_u64_u32 v[31:32], null, v43, v66, v[30:31]
	v_mad_u64_u32 v[28:29], null, v39, v64, v[26:27]
	v_add3_u32 v29, v34, v73, v27
	s_waitcnt lgkmcnt(3)
	v_mul_lo_u32 v26, v53, v41
	s_waitcnt lgkmcnt(1)
	v_mul_lo_u32 v27, v57, v45
	v_mul_lo_u32 v34, v50, v36
	;; [unrolled: 1-line block ×3, first 2 shown]
	v_add3_u32 v35, v35, v49, v29
	v_add3_u32 v36, v38, v61, v28
	v_mad_u64_u32 v[28:29], null, v47, v33, v[7:8]
	v_add3_u32 v31, v42, v63, v31
	v_mad_u64_u32 v[29:30], null, v51, v37, v[26:27]
	v_mul_lo_u32 v7, v56, v44
	s_waitcnt lgkmcnt(0)
	v_mul_lo_u32 v11, v54, v11
	v_add3_u32 v26, v35, v36, v31
	v_mad_u64_u32 v[30:31], null, v55, v12, v[27:28]
	v_add3_u32 v12, v46, v48, v28
	v_add3_u32 v27, v34, v32, v29
	s_delay_alu instid0(VALU_DEP_1) | instskip(NEXT) | instid1(VALU_DEP_4)
	v_add3_u32 v12, v26, v12, v27
	v_add3_u32 v7, v11, v7, v30
	s_delay_alu instid0(VALU_DEP_1)
	v_add3_u32 v24, v12, v7, v24
	s_branch .LBB0_18
.LBB0_37:                               ;   in Loop: Header=BB0_19 Depth=3
	s_mov_b32 s35, -1
	s_mov_b32 s34, 0
                                        ; implicit-def: $vgpr11
	s_cbranch_execz .LBB0_33
.LBB0_38:                               ;   in Loop: Header=BB0_19 Depth=3
                                        ; implicit-def: $vgpr11
	s_and_saveexec_b32 s35, s36
; %bb.39:                               ;   in Loop: Header=BB0_19 Depth=3
	v_add_nc_u32_e32 v11, s33, v25
	s_or_b32 s34, s34, exec_lo
; %bb.40:                               ;   in Loop: Header=BB0_19 Depth=3
	s_or_b32 exec_lo, exec_lo, s35
	s_mov_b32 s35, 0
	s_delay_alu instid0(SALU_CYCLE_1)
	v_mov_b32_e32 v7, s35
	s_and_saveexec_b32 s35, s34
	s_cbranch_execnz .LBB0_34
	s_branch .LBB0_35
.LBB0_41:                               ;   in Loop: Header=BB0_14 Depth=1
	v_add_nc_u32_e32 v7, s2, v9
	s_and_b32 vcc_lo, exec_lo, s8
	s_delay_alu instid0(VALU_DEP_1)
	v_ashrrev_i32_e32 v12, 31, v7
	s_cbranch_vccz .LBB0_43
; %bb.42:                               ;   in Loop: Header=BB0_14 Depth=1
	v_mad_u64_u32 v[10:11], null, v7, s26, v[2:3]
	v_mul_lo_u32 v25, v7, s27
	s_delay_alu instid0(VALU_DEP_3) | instskip(NEXT) | instid1(VALU_DEP_1)
	v_mul_lo_u32 v26, v12, s26
	v_add3_u32 v11, v26, v11, v25
	s_cbranch_execz .LBB0_44
	s_branch .LBB0_45
.LBB0_43:                               ;   in Loop: Header=BB0_14 Depth=1
                                        ; implicit-def: $vgpr10_vgpr11
.LBB0_44:                               ;   in Loop: Header=BB0_14 Depth=1
	v_add_co_u32 v10, vcc_lo, v4, v7
	s_delay_alu instid0(VALU_DEP_2)
	v_add_co_ci_u32_e32 v11, vcc_lo, v5, v12, vcc_lo
.LBB0_45:                               ;   in Loop: Header=BB0_14 Depth=1
	v_cmp_gt_i32_e32 vcc_lo, s3, v9
	s_and_b32 s29, s9, vcc_lo
	s_delay_alu instid0(SALU_CYCLE_1)
	s_and_saveexec_b32 s1, s29
	s_cbranch_execz .LBB0_13
; %bb.46:                               ;   in Loop: Header=BB0_14 Depth=1
	v_mul_lo_u32 v7, v24, s12
	v_lshlrev_b64 v[9:10], 2, v[10:11]
	s_and_b32 vcc_lo, exec_lo, s16
	s_cbranch_vccz .LBB0_48
; %bb.47:                               ;   in Loop: Header=BB0_14 Depth=1
	s_delay_alu instid0(VALU_DEP_1) | instskip(NEXT) | instid1(VALU_DEP_2)
	v_add_co_u32 v11, vcc_lo, s24, v9
	v_add_co_ci_u32_e32 v12, vcc_lo, s25, v10, vcc_lo
	global_load_b32 v26, v[11:12], off
	s_waitcnt vmcnt(0)
	v_mad_u64_u32 v[24:25], null, v26, s13, v[7:8]
	global_store_b32 v[11:12], v24, off
	s_cbranch_execnz .LBB0_13
	s_branch .LBB0_49
.LBB0_48:                               ;   in Loop: Header=BB0_14 Depth=1
.LBB0_49:                               ;   in Loop: Header=BB0_14 Depth=1
	s_delay_alu instid0(VALU_DEP_1) | instskip(NEXT) | instid1(VALU_DEP_2)
	v_add_co_u32 v9, vcc_lo, s24, v9
	v_add_co_ci_u32_e32 v10, vcc_lo, s25, v10, vcc_lo
	global_store_b32 v[9:10], v7, off
	s_branch .LBB0_13
.LBB0_50:
	s_nop 0
	s_sendmsg sendmsg(MSG_DEALLOC_VGPRS)
	s_endpgm
	.section	.rodata,"a",@progbits
	.p2align	6, 0x0
	.amdhsa_kernel _ZN9rocsparseL30bellmm_general_blockdim_kernelILi32ELi32EiiiiiEEv20rocsparse_operation_S1_20rocsparse_direction_T2_S3_NS_24const_host_device_scalarIT1_EES3_S3_PKS3_PKT3_PKT4_l16rocsparse_order_S6_PT5_lSF_21rocsparse_index_base_b
		.amdhsa_group_segment_fixed_size 8192
		.amdhsa_private_segment_fixed_size 0
		.amdhsa_kernarg_size 116
		.amdhsa_user_sgpr_count 14
		.amdhsa_user_sgpr_dispatch_ptr 0
		.amdhsa_user_sgpr_queue_ptr 0
		.amdhsa_user_sgpr_kernarg_segment_ptr 1
		.amdhsa_user_sgpr_dispatch_id 0
		.amdhsa_user_sgpr_private_segment_size 0
		.amdhsa_wavefront_size32 1
		.amdhsa_uses_dynamic_stack 0
		.amdhsa_enable_private_segment 0
		.amdhsa_system_sgpr_workgroup_id_x 1
		.amdhsa_system_sgpr_workgroup_id_y 1
		.amdhsa_system_sgpr_workgroup_id_z 0
		.amdhsa_system_sgpr_workgroup_info 0
		.amdhsa_system_vgpr_workitem_id 1
		.amdhsa_next_free_vgpr 74
		.amdhsa_next_free_sgpr 38
		.amdhsa_reserve_vcc 1
		.amdhsa_float_round_mode_32 0
		.amdhsa_float_round_mode_16_64 0
		.amdhsa_float_denorm_mode_32 3
		.amdhsa_float_denorm_mode_16_64 3
		.amdhsa_dx10_clamp 1
		.amdhsa_ieee_mode 1
		.amdhsa_fp16_overflow 0
		.amdhsa_workgroup_processor_mode 1
		.amdhsa_memory_ordered 1
		.amdhsa_forward_progress 0
		.amdhsa_shared_vgpr_count 0
		.amdhsa_exception_fp_ieee_invalid_op 0
		.amdhsa_exception_fp_denorm_src 0
		.amdhsa_exception_fp_ieee_div_zero 0
		.amdhsa_exception_fp_ieee_overflow 0
		.amdhsa_exception_fp_ieee_underflow 0
		.amdhsa_exception_fp_ieee_inexact 0
		.amdhsa_exception_int_div_zero 0
	.end_amdhsa_kernel
	.section	.text._ZN9rocsparseL30bellmm_general_blockdim_kernelILi32ELi32EiiiiiEEv20rocsparse_operation_S1_20rocsparse_direction_T2_S3_NS_24const_host_device_scalarIT1_EES3_S3_PKS3_PKT3_PKT4_l16rocsparse_order_S6_PT5_lSF_21rocsparse_index_base_b,"axG",@progbits,_ZN9rocsparseL30bellmm_general_blockdim_kernelILi32ELi32EiiiiiEEv20rocsparse_operation_S1_20rocsparse_direction_T2_S3_NS_24const_host_device_scalarIT1_EES3_S3_PKS3_PKT3_PKT4_l16rocsparse_order_S6_PT5_lSF_21rocsparse_index_base_b,comdat
.Lfunc_end0:
	.size	_ZN9rocsparseL30bellmm_general_blockdim_kernelILi32ELi32EiiiiiEEv20rocsparse_operation_S1_20rocsparse_direction_T2_S3_NS_24const_host_device_scalarIT1_EES3_S3_PKS3_PKT3_PKT4_l16rocsparse_order_S6_PT5_lSF_21rocsparse_index_base_b, .Lfunc_end0-_ZN9rocsparseL30bellmm_general_blockdim_kernelILi32ELi32EiiiiiEEv20rocsparse_operation_S1_20rocsparse_direction_T2_S3_NS_24const_host_device_scalarIT1_EES3_S3_PKS3_PKT3_PKT4_l16rocsparse_order_S6_PT5_lSF_21rocsparse_index_base_b
                                        ; -- End function
	.section	.AMDGPU.csdata,"",@progbits
; Kernel info:
; codeLenInByte = 2204
; NumSgprs: 40
; NumVgprs: 74
; ScratchSize: 0
; MemoryBound: 0
; FloatMode: 240
; IeeeMode: 1
; LDSByteSize: 8192 bytes/workgroup (compile time only)
; SGPRBlocks: 4
; VGPRBlocks: 9
; NumSGPRsForWavesPerEU: 40
; NumVGPRsForWavesPerEU: 74
; Occupancy: 16
; WaveLimiterHint : 0
; COMPUTE_PGM_RSRC2:SCRATCH_EN: 0
; COMPUTE_PGM_RSRC2:USER_SGPR: 14
; COMPUTE_PGM_RSRC2:TRAP_HANDLER: 0
; COMPUTE_PGM_RSRC2:TGID_X_EN: 1
; COMPUTE_PGM_RSRC2:TGID_Y_EN: 1
; COMPUTE_PGM_RSRC2:TGID_Z_EN: 0
; COMPUTE_PGM_RSRC2:TIDIG_COMP_CNT: 1
	.section	.text._ZN9rocsparseL30bellmm_general_blockdim_kernelILi32ELi32EiliiiEEv20rocsparse_operation_S1_20rocsparse_direction_T2_S3_NS_24const_host_device_scalarIT1_EES3_S3_PKS3_PKT3_PKT4_l16rocsparse_order_S6_PT5_lSF_21rocsparse_index_base_b,"axG",@progbits,_ZN9rocsparseL30bellmm_general_blockdim_kernelILi32ELi32EiliiiEEv20rocsparse_operation_S1_20rocsparse_direction_T2_S3_NS_24const_host_device_scalarIT1_EES3_S3_PKS3_PKT3_PKT4_l16rocsparse_order_S6_PT5_lSF_21rocsparse_index_base_b,comdat
	.globl	_ZN9rocsparseL30bellmm_general_blockdim_kernelILi32ELi32EiliiiEEv20rocsparse_operation_S1_20rocsparse_direction_T2_S3_NS_24const_host_device_scalarIT1_EES3_S3_PKS3_PKT3_PKT4_l16rocsparse_order_S6_PT5_lSF_21rocsparse_index_base_b ; -- Begin function _ZN9rocsparseL30bellmm_general_blockdim_kernelILi32ELi32EiliiiEEv20rocsparse_operation_S1_20rocsparse_direction_T2_S3_NS_24const_host_device_scalarIT1_EES3_S3_PKS3_PKT3_PKT4_l16rocsparse_order_S6_PT5_lSF_21rocsparse_index_base_b
	.p2align	8
	.type	_ZN9rocsparseL30bellmm_general_blockdim_kernelILi32ELi32EiliiiEEv20rocsparse_operation_S1_20rocsparse_direction_T2_S3_NS_24const_host_device_scalarIT1_EES3_S3_PKS3_PKT3_PKT4_l16rocsparse_order_S6_PT5_lSF_21rocsparse_index_base_b,@function
_ZN9rocsparseL30bellmm_general_blockdim_kernelILi32ELi32EiliiiEEv20rocsparse_operation_S1_20rocsparse_direction_T2_S3_NS_24const_host_device_scalarIT1_EES3_S3_PKS3_PKT3_PKT4_l16rocsparse_order_S6_PT5_lSF_21rocsparse_index_base_b: ; @_ZN9rocsparseL30bellmm_general_blockdim_kernelILi32ELi32EiliiiEEv20rocsparse_operation_S1_20rocsparse_direction_T2_S3_NS_24const_host_device_scalarIT1_EES3_S3_PKS3_PKT3_PKT4_l16rocsparse_order_S6_PT5_lSF_21rocsparse_index_base_b
; %bb.0:
	s_clause 0x1
	s_load_b128 s[24:27], s[0:1], 0x78
	s_load_b256 s[4:11], s[0:1], 0x10
	s_mov_b32 s2, s15
	s_mov_b32 s15, -1
                                        ; implicit-def: $sgpr33
	s_waitcnt lgkmcnt(0)
	s_bitcmp1_b32 s26, 0
	s_cselect_b32 s3, -1, 0
	s_delay_alu instid0(SALU_CYCLE_1) | instskip(NEXT) | instid1(SALU_CYCLE_1)
	s_xor_b32 s3, s3, -1
	s_and_b32 vcc_lo, exec_lo, s3
	s_cbranch_vccnz .LBB1_4
; %bb.1:
	s_load_b64 s[12:13], s[0:1], 0x60
	s_and_not1_b32 vcc_lo, exec_lo, s15
	s_cbranch_vccz .LBB1_5
.LBB1_2:
	s_and_b32 vcc_lo, exec_lo, s3
	s_cbranch_vccz .LBB1_6
.LBB1_3:
	s_waitcnt lgkmcnt(0)
	s_load_b32 s36, s[12:13], 0x0
	s_cbranch_execz .LBB1_7
	s_branch .LBB1_8
.LBB1_4:
	s_load_b32 s33, s[8:9], 0x0
	s_load_b64 s[12:13], s[0:1], 0x60
	s_cbranch_execnz .LBB1_2
.LBB1_5:
	s_waitcnt lgkmcnt(0)
	s_mov_b32 s33, s8
	s_and_b32 vcc_lo, exec_lo, s3
	s_cbranch_vccnz .LBB1_3
.LBB1_6:
                                        ; implicit-def: $sgpr36
.LBB1_7:
	s_waitcnt lgkmcnt(0)
	s_mov_b32 s36, s12
.LBB1_8:
	s_waitcnt lgkmcnt(0)
	s_cmp_eq_u32 s33, 0
	s_mov_b32 s15, 0
	s_cselect_b32 s3, -1, 0
	s_cmp_eq_u32 s36, 1
	s_cselect_b32 s8, -1, 0
	s_delay_alu instid0(SALU_CYCLE_1) | instskip(NEXT) | instid1(SALU_CYCLE_1)
	s_and_b32 s3, s3, s8
	s_and_b32 vcc_lo, exec_lo, s3
	s_cbranch_vccnz .LBB1_49
; %bb.9:
	s_load_b64 s[12:13], s[0:1], 0x30
	v_cmp_ge_i64_e64 s3, s[14:15], s[4:5]
	v_cmp_lt_i64_e64 s30, s[14:15], s[4:5]
	s_mov_b64 s[26:27], 0
	s_delay_alu instid0(VALU_DEP_2)
	s_and_b32 vcc_lo, exec_lo, s3
	s_cbranch_vccnz .LBB1_13
; %bb.10:
	s_waitcnt lgkmcnt(0)
	s_or_b64 s[8:9], s[10:11], s[12:13]
	s_mov_b32 s8, 0
	s_delay_alu instid0(SALU_CYCLE_1)
	s_cmp_lg_u64 s[8:9], 0
	s_cbranch_scc0 .LBB1_50
; %bb.11:
	s_ashr_i32 s16, s13, 31
	s_delay_alu instid0(SALU_CYCLE_1) | instskip(SKIP_2) | instid1(SALU_CYCLE_1)
	s_add_u32 s18, s12, s16
	s_mov_b32 s17, s16
	s_addc_u32 s19, s13, s16
	s_xor_b64 s[18:19], s[18:19], s[16:17]
	s_delay_alu instid0(SALU_CYCLE_1) | instskip(SKIP_3) | instid1(VALU_DEP_1)
	v_cvt_f32_u32_e32 v1, s18
	v_cvt_f32_u32_e32 v2, s19
	s_sub_u32 s15, 0, s18
	s_subb_u32 s20, 0, s19
	v_fmamk_f32 v1, v2, 0x4f800000, v1
	s_delay_alu instid0(VALU_DEP_1) | instskip(SKIP_2) | instid1(VALU_DEP_1)
	v_rcp_f32_e32 v1, v1
	s_waitcnt_depctr 0xfff
	v_mul_f32_e32 v1, 0x5f7ffffc, v1
	v_mul_f32_e32 v2, 0x2f800000, v1
	s_delay_alu instid0(VALU_DEP_1) | instskip(NEXT) | instid1(VALU_DEP_1)
	v_trunc_f32_e32 v2, v2
	v_fmamk_f32 v1, v2, 0xcf800000, v1
	v_cvt_u32_f32_e32 v2, v2
	s_delay_alu instid0(VALU_DEP_2) | instskip(NEXT) | instid1(VALU_DEP_2)
	v_cvt_u32_f32_e32 v1, v1
	v_readfirstlane_b32 s3, v2
	s_delay_alu instid0(VALU_DEP_2) | instskip(NEXT) | instid1(VALU_DEP_2)
	v_readfirstlane_b32 s9, v1
	s_mul_i32 s21, s15, s3
	s_delay_alu instid0(VALU_DEP_1)
	s_mul_hi_u32 s23, s15, s9
	s_mul_i32 s22, s20, s9
	s_add_i32 s21, s23, s21
	s_mul_i32 s26, s15, s9
	s_add_i32 s21, s21, s22
	s_mul_hi_u32 s23, s9, s26
	s_mul_hi_u32 s27, s3, s26
	s_mul_i32 s22, s3, s26
	s_mul_hi_u32 s26, s9, s21
	s_mul_i32 s9, s9, s21
	s_mul_hi_u32 s28, s3, s21
	s_add_u32 s9, s23, s9
	s_addc_u32 s23, 0, s26
	s_add_u32 s9, s9, s22
	s_mul_i32 s21, s3, s21
	s_addc_u32 s9, s23, s27
	s_addc_u32 s22, s28, 0
	s_add_u32 s9, s9, s21
	s_addc_u32 s21, 0, s22
	v_add_co_u32 v1, s9, v1, s9
	s_delay_alu instid0(VALU_DEP_1) | instskip(SKIP_1) | instid1(VALU_DEP_1)
	s_cmp_lg_u32 s9, 0
	s_addc_u32 s3, s3, s21
	v_readfirstlane_b32 s9, v1
	s_mul_i32 s21, s15, s3
	s_delay_alu instid0(VALU_DEP_1)
	s_mul_hi_u32 s22, s15, s9
	s_mul_i32 s20, s20, s9
	s_add_i32 s21, s22, s21
	s_mul_i32 s15, s15, s9
	s_add_i32 s21, s21, s20
	s_mul_hi_u32 s22, s3, s15
	s_mul_i32 s23, s3, s15
	s_mul_hi_u32 s15, s9, s15
	s_mul_hi_u32 s26, s9, s21
	s_mul_i32 s9, s9, s21
	s_mul_hi_u32 s20, s3, s21
	s_add_u32 s9, s15, s9
	s_addc_u32 s15, 0, s26
	s_add_u32 s9, s9, s23
	s_mul_i32 s21, s3, s21
	s_addc_u32 s9, s15, s22
	s_addc_u32 s15, s20, 0
	s_add_u32 s9, s9, s21
	s_addc_u32 s15, 0, s15
	v_add_co_u32 v1, s9, v1, s9
	s_delay_alu instid0(VALU_DEP_1) | instskip(SKIP_2) | instid1(VALU_DEP_1)
	s_cmp_lg_u32 s9, 0
	s_addc_u32 s3, s3, s15
	s_ashr_i32 s20, s11, 31
	v_readfirstlane_b32 s9, v1
	s_add_u32 s22, s10, s20
	s_mov_b32 s21, s20
	s_addc_u32 s23, s11, s20
	s_delay_alu instid0(SALU_CYCLE_1) | instskip(NEXT) | instid1(SALU_CYCLE_1)
	s_xor_b64 s[22:23], s[22:23], s[20:21]
	s_mul_i32 s15, s22, s3
	s_mul_hi_u32 s26, s22, s9
	s_mul_hi_u32 s11, s22, s3
	;; [unrolled: 1-line block ×3, first 2 shown]
	s_mul_i32 s9, s23, s9
	s_add_u32 s15, s26, s15
	s_addc_u32 s11, 0, s11
	s_mul_hi_u32 s27, s23, s3
	s_add_u32 s9, s15, s9
	s_mul_i32 s3, s23, s3
	s_addc_u32 s9, s11, s28
	s_addc_u32 s11, s27, 0
	s_add_u32 s3, s9, s3
	s_addc_u32 s9, 0, s11
	s_mul_i32 s27, s18, s3
	s_mul_hi_u32 s11, s18, s3
	s_mul_i32 s26, s18, s9
	v_sub_co_u32 v1, s22, s22, s27
	s_mul_i32 s15, s19, s3
	s_add_i32 s11, s11, s26
	s_delay_alu instid0(SALU_CYCLE_1) | instskip(NEXT) | instid1(VALU_DEP_1)
	s_add_i32 s11, s11, s15
	v_sub_co_u32 v2, s26, v1, s18
	s_sub_i32 s15, s23, s11
	s_cmp_lg_u32 s22, 0
	s_subb_u32 s15, s15, s19
	s_cmp_lg_u32 s26, 0
	v_readfirstlane_b32 s26, v2
	s_subb_u32 s15, s15, 0
	s_delay_alu instid0(SALU_CYCLE_1) | instskip(SKIP_1) | instid1(VALU_DEP_1)
	s_cmp_ge_u32 s15, s19
	s_cselect_b32 s27, -1, 0
	s_cmp_ge_u32 s26, s18
	s_cselect_b32 s26, -1, 0
	s_cmp_eq_u32 s15, s19
	s_cselect_b32 s15, s26, s27
	s_add_u32 s26, s3, 1
	s_addc_u32 s27, s9, 0
	s_add_u32 s28, s3, 2
	s_addc_u32 s29, s9, 0
	s_cmp_lg_u32 s15, 0
	s_cselect_b32 s15, s28, s26
	s_cselect_b32 s26, s29, s27
	s_cmp_lg_u32 s22, 0
	v_readfirstlane_b32 s22, v1
	s_subb_u32 s11, s23, s11
	s_delay_alu instid0(SALU_CYCLE_1) | instskip(SKIP_1) | instid1(VALU_DEP_1)
	s_cmp_ge_u32 s11, s19
	s_cselect_b32 s23, -1, 0
	s_cmp_ge_u32 s22, s18
	s_cselect_b32 s18, -1, 0
	s_cmp_eq_u32 s11, s19
	s_cselect_b32 s11, s18, s23
	s_delay_alu instid0(SALU_CYCLE_1) | instskip(SKIP_3) | instid1(SALU_CYCLE_1)
	s_cmp_lg_u32 s11, 0
	s_cselect_b32 s19, s26, s9
	s_cselect_b32 s18, s15, s3
	s_xor_b64 s[16:17], s[20:21], s[16:17]
	s_xor_b64 s[18:19], s[18:19], s[16:17]
	s_delay_alu instid0(SALU_CYCLE_1)
	s_sub_u32 s26, s18, s16
	s_subb_u32 s27, s19, s17
	s_and_not1_b32 vcc_lo, exec_lo, s8
	s_cbranch_vccnz .LBB1_13
.LBB1_12:
	v_cvt_f32_u32_e32 v1, s12
	s_sub_i32 s8, 0, s12
	s_mov_b32 s27, 0
	s_delay_alu instid0(VALU_DEP_1) | instskip(SKIP_2) | instid1(VALU_DEP_1)
	v_rcp_iflag_f32_e32 v1, v1
	s_waitcnt_depctr 0xfff
	v_mul_f32_e32 v1, 0x4f7ffffe, v1
	v_cvt_u32_f32_e32 v1, v1
	s_delay_alu instid0(VALU_DEP_1) | instskip(NEXT) | instid1(VALU_DEP_1)
	v_readfirstlane_b32 s3, v1
	s_mul_i32 s8, s8, s3
	s_delay_alu instid0(SALU_CYCLE_1) | instskip(NEXT) | instid1(SALU_CYCLE_1)
	s_mul_hi_u32 s8, s3, s8
	s_add_i32 s3, s3, s8
	s_delay_alu instid0(SALU_CYCLE_1) | instskip(NEXT) | instid1(SALU_CYCLE_1)
	s_mul_hi_u32 s3, s10, s3
	s_mul_i32 s8, s3, s12
	s_add_i32 s9, s3, 1
	s_sub_i32 s8, s10, s8
	s_delay_alu instid0(SALU_CYCLE_1)
	s_sub_i32 s10, s8, s12
	s_cmp_ge_u32 s8, s12
	s_cselect_b32 s3, s9, s3
	s_cselect_b32 s8, s10, s8
	s_add_i32 s9, s3, 1
	s_cmp_ge_u32 s8, s12
	s_cselect_b32 s26, s9, s3
.LBB1_13:
	s_waitcnt lgkmcnt(0)
	v_cmp_lt_i64_e64 s3, s[12:13], 1
	s_delay_alu instid0(VALU_DEP_1)
	s_and_b32 vcc_lo, exec_lo, s3
	s_cbranch_vccnz .LBB1_49
; %bb.14:
	s_clause 0x3
	s_load_b256 s[16:23], s[0:1], 0x38
	s_load_b64 s[34:35], s[0:1], 0x4
	s_load_b128 s[8:11], s[0:1], 0x68
	s_load_b32 s0, s[0:1], 0x58
	v_bfe_u32 v21, v0, 10, 10
	s_lshl_b32 s2, s2, 5
	s_mul_i32 s15, s12, s13
	s_mul_hi_u32 s28, s12, s12
	v_and_b32_e32 v22, 0x3ff, v0
	v_add_co_u32 v1, s1, s2, v21
	s_delay_alu instid0(VALU_DEP_1)
	v_add_co_ci_u32_e64 v2, null, 0, 0, s1
	s_mul_i32 s1, s14, s13
	s_mul_hi_u32 s2, s14, s12
	v_lshlrev_b32_e32 v0, 5, v21
	s_add_i32 s3, s2, s1
	s_add_i32 s1, s28, s15
	v_lshlrev_b64 v[3:4], 2, v[1:2]
	s_add_i32 s15, s1, s15
	v_add_lshl_u32 v25, v0, v22, 2
	s_waitcnt lgkmcnt(0)
	v_mul_lo_u32 v9, s23, v1
	v_mul_lo_u32 v10, s22, v2
	v_mad_u64_u32 v[7:8], null, s22, v1, 0
	s_cmpk_eq_i32 s34, 0x6f
	v_add_co_u32 v23, vcc_lo, s20, v3
	s_cselect_b32 s1, -1, 0
	s_cmp_lg_u32 s0, 1
	v_cmp_gt_i64_e64 s0, s[6:7], v[1:2]
	s_cselect_b32 s6, -1, 0
	s_cmp_lg_u32 s35, 0
	v_add_co_ci_u32_e32 v24, vcc_lo, s21, v4, vcc_lo
	v_mul_lo_u32 v0, v2, s10
	v_mul_lo_u32 v5, v1, s11
	v_mad_u64_u32 v[3:4], null, v1, s10, 0
	s_cselect_b32 s39, -1, 0
	s_cmp_lg_u32 s24, 1
	v_add3_u32 v8, v8, v10, v9
	v_dual_mov_b32 v6, 0 :: v_dual_lshlrev_b32 v27, 2, v22
	s_cselect_b32 s40, -1, 0
	s_and_b32 s41, s30, s0
	s_mul_i32 s2, s14, s12
	s_cmp_lg_u32 s36, 0
	v_lshlrev_b64 v[7:8], 2, v[7:8]
	s_cselect_b32 s42, -1, 0
	s_xor_b32 s1, s1, s6
	s_lshl_b64 s[6:7], s[2:3], 2
	v_add3_u32 v4, v4, v5, v0
	s_xor_b32 s43, s1, -1
	v_add_co_u32 v0, s1, s6, v27
	s_delay_alu instid0(VALU_DEP_1) | instskip(SKIP_3) | instid1(VALU_DEP_4)
	v_add_co_ci_u32_e64 v9, null, s7, 0, s1
	v_lshlrev_b32_e32 v5, 2, v21
	v_add_co_u32 v10, vcc_lo, v7, v27
	v_add_co_ci_u32_e32 v11, vcc_lo, 0, v8, vcc_lo
	v_mul_lo_u32 v9, s12, v9
	v_mul_lo_u32 v12, s13, v0
	v_mad_u64_u32 v[7:8], null, s12, v0, v[5:6]
	s_mul_i32 s37, s12, s12
	v_add_co_u32 v5, vcc_lo, s20, v10
	v_add_co_ci_u32_e32 v6, vcc_lo, s21, v11, vcc_lo
	s_mul_i32 s1, s37, s5
	s_delay_alu instid0(VALU_DEP_3) | instskip(SKIP_1) | instid1(VALU_DEP_4)
	v_add3_u32 v0, v12, v8, v9
	s_mul_hi_u32 s20, s37, s4
	v_add_co_u32 v7, vcc_lo, s18, v7
	s_add_i32 s1, s20, s1
	s_mul_i32 s20, s15, s4
	v_cmp_gt_i64_e64 s44, s[26:27], 0
	v_add_nc_u32_e32 v26, 0x1000, v25
	v_lshl_add_u32 v28, v21, 7, 0x1000
	v_add_co_ci_u32_e32 v8, vcc_lo, s19, v0, vcc_lo
	s_mov_b32 s38, s25
	s_add_i32 s25, s1, s20
	s_mul_i32 s24, s37, s4
	s_mov_b64 s[28:29], 0
	s_lshl_b64 s[6:7], s[12:13], 2
	s_lshl_b64 s[20:21], s[12:13], 7
	s_lshl_b64 s[24:25], s[24:25], 2
	s_branch .LBB1_16
.LBB1_15:                               ;   in Loop: Header=BB1_16 Depth=1
	s_or_b32 exec_lo, exec_lo, s1
	s_add_u32 s28, s28, 32
	s_addc_u32 s29, s29, 0
	v_add_co_u32 v7, vcc_lo, v7, s20
	v_cmp_lt_i64_e64 s1, s[28:29], s[12:13]
	v_add_co_ci_u32_e32 v8, vcc_lo, s21, v8, vcc_lo
	s_delay_alu instid0(VALU_DEP_2)
	s_and_b32 vcc_lo, exec_lo, s1
	s_cbranch_vccz .LBB1_49
.LBB1_16:                               ; =>This Loop Header: Depth=1
                                        ;     Child Loop BB1_19 Depth 2
                                        ;       Child Loop BB1_21 Depth 3
	v_add_co_u32 v9, s1, s28, v22
	s_delay_alu instid0(VALU_DEP_1) | instskip(SKIP_1) | instid1(VALU_DEP_1)
	v_add_co_ci_u32_e64 v10, null, s29, 0, s1
	s_and_not1_b32 vcc_lo, exec_lo, s44
	v_cmp_gt_i64_e64 s1, s[12:13], v[9:10]
	s_cbranch_vccnz .LBB1_39
; %bb.17:                               ;   in Loop: Header=BB1_16 Depth=1
	v_lshlrev_b64 v[11:12], 2, v[9:10]
	v_mov_b32_e32 v0, 0
	s_mov_b64 s[30:31], 0
	s_delay_alu instid0(VALU_DEP_2) | instskip(NEXT) | instid1(VALU_DEP_3)
	v_add_co_u32 v29, vcc_lo, s18, v11
	v_add_co_ci_u32_e32 v30, vcc_lo, s19, v12, vcc_lo
	v_dual_mov_b32 v12, v8 :: v_dual_mov_b32 v11, v7
	s_branch .LBB1_19
.LBB1_18:                               ;   in Loop: Header=BB1_19 Depth=2
	v_add_co_u32 v11, vcc_lo, v11, s24
	s_add_u32 s30, s30, 1
	v_add_co_ci_u32_e32 v12, vcc_lo, s25, v12, vcc_lo
	s_addc_u32 s31, s31, 0
	s_delay_alu instid0(SALU_CYCLE_1)
	s_cmp_eq_u64 s[30:31], s[26:27]
	s_cbranch_scc1 .LBB1_40
.LBB1_19:                               ;   Parent Loop BB1_16 Depth=1
                                        ; =>  This Loop Header: Depth=2
                                        ;       Child Loop BB1_21 Depth 3
	s_mul_i32 s34, s30, s5
	s_mul_hi_u32 s35, s30, s4
	s_mul_i32 s45, s30, s4
	s_add_i32 s34, s35, s34
	s_mul_i32 s35, s31, s4
	v_dual_mov_b32 v16, v12 :: v_dual_mov_b32 v15, v11
	s_add_i32 s35, s34, s35
	s_add_u32 s34, s45, s14
	s_addc_u32 s35, s35, 0
	s_mul_hi_u32 s45, s37, s34
	s_mul_i32 s46, s37, s35
	s_mul_i32 s48, s15, s34
	s_add_i32 s45, s45, s46
	s_lshl_b64 s[46:47], s[34:35], 3
	s_add_i32 s35, s45, s48
	s_add_u32 s46, s16, s46
	s_addc_u32 s47, s17, s47
	s_mul_i32 s34, s37, s34
	s_load_b64 s[46:47], s[46:47], 0x0
	s_waitcnt lgkmcnt(0)
	s_sub_u32 s48, s46, s38
	s_subb_u32 s49, s47, 0
	v_mad_u64_u32 v[13:14], null, s6, s48, v[5:6]
	s_lshl_b64 s[34:35], s[34:35], 2
	s_mul_i32 s50, s7, s48
	v_add_co_u32 v31, vcc_lo, v29, s34
	s_mul_i32 s34, s6, s49
	s_mul_i32 s46, s48, s13
	s_mul_hi_u32 s47, s48, s12
	v_cmp_gt_i64_e64 s45, s[48:49], -1
	v_add_co_ci_u32_e32 v32, vcc_lo, s35, v30, vcc_lo
	v_add3_u32 v14, s34, s50, v14
	s_mul_i32 s51, s49, s12
	s_add_i32 s35, s47, s46
	s_mul_i32 s47, s48, s12
	s_add_i32 s46, s35, s51
	s_mov_b64 s[34:35], 0
	s_branch .LBB1_21
.LBB1_20:                               ;   in Loop: Header=BB1_21 Depth=3
	s_add_u32 s34, s34, 32
	s_addc_u32 s35, s35, 0
	v_add_co_u32 v13, vcc_lo, 0x80, v13
	v_cmp_ge_i64_e64 s48, s[34:35], s[12:13]
	v_add_co_ci_u32_e32 v14, vcc_lo, 0, v14, vcc_lo
	v_add_co_u32 v15, vcc_lo, 0x80, v15
	v_add_co_ci_u32_e32 v16, vcc_lo, 0, v16, vcc_lo
	s_delay_alu instid0(VALU_DEP_4)
	s_and_b32 vcc_lo, exec_lo, s48
	s_barrier
	buffer_gl0_inv
	s_cbranch_vccnz .LBB1_18
.LBB1_21:                               ;   Parent Loop BB1_16 Depth=1
                                        ;     Parent Loop BB1_19 Depth=2
                                        ; =>    This Inner Loop Header: Depth=3
	v_add_co_u32 v19, s48, s34, v22
	s_delay_alu instid0(VALU_DEP_1) | instskip(NEXT) | instid1(VALU_DEP_1)
	v_add_co_ci_u32_e64 v20, null, s35, 0, s48
	v_cmp_gt_i64_e32 vcc_lo, s[12:13], v[19:20]
	s_and_b32 s48, s0, vcc_lo
	s_and_b32 vcc_lo, exec_lo, s43
	s_and_b32 s50, s48, s45
	s_cbranch_vccz .LBB1_25
; %bb.22:                               ;   in Loop: Header=BB1_21 Depth=3
	s_mov_b32 s49, 0
	s_mov_b32 s48, 0
                                        ; implicit-def: $vgpr17_vgpr18
	s_and_saveexec_b32 s51, s50
	s_delay_alu instid0(SALU_CYCLE_1)
	s_xor_b32 s51, exec_lo, s51
; %bb.23:                               ;   in Loop: Header=BB1_21 Depth=3
	v_add_co_u32 v19, vcc_lo, v19, s47
	v_add_co_ci_u32_e32 v17, vcc_lo, s46, v20, vcc_lo
	s_mov_b32 s48, exec_lo
	s_delay_alu instid0(VALU_DEP_2) | instskip(NEXT) | instid1(VALU_DEP_2)
	v_mul_lo_u32 v33, v19, s23
	v_mul_lo_u32 v20, v17, s22
	v_mad_u64_u32 v[17:18], null, v19, s22, 0
	s_delay_alu instid0(VALU_DEP_1) | instskip(NEXT) | instid1(VALU_DEP_1)
	v_add3_u32 v18, v18, v33, v20
	v_lshlrev_b64 v[17:18], 2, v[17:18]
	s_delay_alu instid0(VALU_DEP_1) | instskip(NEXT) | instid1(VALU_DEP_2)
	v_add_co_u32 v17, vcc_lo, v23, v17
	v_add_co_ci_u32_e32 v18, vcc_lo, v24, v18, vcc_lo
; %bb.24:                               ;   in Loop: Header=BB1_21 Depth=3
	s_or_b32 exec_lo, exec_lo, s51
	s_delay_alu instid0(SALU_CYCLE_1)
	s_and_b32 vcc_lo, exec_lo, s49
	s_cbranch_vccnz .LBB1_26
	s_branch .LBB1_27
.LBB1_25:                               ;   in Loop: Header=BB1_21 Depth=3
	s_mov_b32 s49, -1
	s_mov_b32 s48, 0
                                        ; implicit-def: $vgpr17_vgpr18
	s_cbranch_execz .LBB1_27
.LBB1_26:                               ;   in Loop: Header=BB1_21 Depth=3
	v_dual_mov_b32 v18, v14 :: v_dual_mov_b32 v17, v13
	s_and_not1_b32 s48, s48, exec_lo
	s_and_b32 s50, s50, exec_lo
	s_mov_b32 s49, 0
	s_or_b32 s48, s48, s50
.LBB1_27:                               ;   in Loop: Header=BB1_21 Depth=3
	v_mov_b32_e32 v33, s49
	s_and_saveexec_b32 s49, s48
	s_cbranch_execz .LBB1_29
; %bb.28:                               ;   in Loop: Header=BB1_21 Depth=3
	global_load_b32 v33, v[17:18], off
.LBB1_29:                               ;   in Loop: Header=BB1_21 Depth=3
	s_or_b32 exec_lo, exec_lo, s49
	v_add_co_u32 v19, s48, s34, v21
	s_delay_alu instid0(VALU_DEP_1)
	v_add_co_ci_u32_e64 v20, null, s35, 0, s48
	s_waitcnt vmcnt(0)
	ds_store_b32 v26, v33
	v_cmp_gt_i64_e32 vcc_lo, s[12:13], v[19:20]
	s_and_b32 s48, s1, vcc_lo
	s_and_b32 vcc_lo, exec_lo, s39
	s_and_b32 s50, s48, s45
	s_cbranch_vccz .LBB1_38
; %bb.30:                               ;   in Loop: Header=BB1_21 Depth=3
	s_mov_b32 s49, 0
	s_mov_b32 s48, 0
                                        ; implicit-def: $vgpr17_vgpr18
	s_and_saveexec_b32 s51, s50
	s_delay_alu instid0(SALU_CYCLE_1)
	s_xor_b32 s51, exec_lo, s51
; %bb.31:                               ;   in Loop: Header=BB1_21 Depth=3
	v_mul_lo_u32 v20, v20, s12
	v_mul_lo_u32 v33, v19, s13
	v_mad_u64_u32 v[17:18], null, v19, s12, 0
	s_mov_b32 s48, exec_lo
	s_delay_alu instid0(VALU_DEP_1) | instskip(NEXT) | instid1(VALU_DEP_1)
	v_add3_u32 v18, v18, v33, v20
	v_lshlrev_b64 v[17:18], 2, v[17:18]
	s_delay_alu instid0(VALU_DEP_1) | instskip(NEXT) | instid1(VALU_DEP_2)
	v_add_co_u32 v17, vcc_lo, v31, v17
	v_add_co_ci_u32_e32 v18, vcc_lo, v32, v18, vcc_lo
; %bb.32:                               ;   in Loop: Header=BB1_21 Depth=3
	s_or_b32 exec_lo, exec_lo, s51
	s_delay_alu instid0(SALU_CYCLE_1)
	s_and_b32 vcc_lo, exec_lo, s49
	s_cbranch_vccz .LBB1_34
.LBB1_33:                               ;   in Loop: Header=BB1_21 Depth=3
	v_dual_mov_b32 v18, v16 :: v_dual_mov_b32 v17, v15
	s_and_not1_b32 s48, s48, exec_lo
	s_and_b32 s50, s50, exec_lo
	s_mov_b32 s49, 0
	s_or_b32 s48, s48, s50
.LBB1_34:                               ;   in Loop: Header=BB1_21 Depth=3
	v_mov_b32_e32 v19, s49
	s_and_saveexec_b32 s49, s48
	s_cbranch_execz .LBB1_36
; %bb.35:                               ;   in Loop: Header=BB1_21 Depth=3
	global_load_b32 v19, v[17:18], off
.LBB1_36:                               ;   in Loop: Header=BB1_21 Depth=3
	s_or_b32 exec_lo, exec_lo, s49
	s_delay_alu instid0(SALU_CYCLE_1)
	s_and_not1_b32 vcc_lo, exec_lo, s45
	s_waitcnt vmcnt(0)
	ds_store_b32 v25, v19
	s_waitcnt lgkmcnt(0)
	s_waitcnt_vscnt null, 0x0
	s_barrier
	buffer_gl0_inv
	s_cbranch_vccnz .LBB1_20
; %bb.37:                               ;   in Loop: Header=BB1_21 Depth=3
	ds_load_2addr_b32 v[53:54], v27 offset0:64 offset1:96
	v_add_nc_u32_e32 v45, 0x400, v27
	ds_load_b128 v[17:20], v28
	ds_load_2addr_b32 v[60:61], v27 offset1:32
	ds_load_b128 v[33:36], v28 offset:16
	ds_load_2addr_b32 v[55:56], v27 offset0:192 offset1:224
	ds_load_2addr_b32 v[62:63], v27 offset0:128 offset1:160
	;; [unrolled: 1-line block ×3, first 2 shown]
	ds_load_b128 v[37:40], v28 offset:32
	ds_load_2addr_b32 v[64:65], v45 offset1:32
	v_add_nc_u32_e32 v59, 0x800, v27
	ds_load_b128 v[41:44], v28 offset:48
	ds_load_2addr_b32 v[66:67], v45 offset0:192 offset1:224
	ds_load_2addr_b32 v[68:69], v45 offset0:128 offset1:160
	;; [unrolled: 1-line block ×3, first 2 shown]
	ds_load_b128 v[45:48], v28 offset:64
	ds_load_2addr_b32 v[72:73], v59 offset1:32
	ds_load_b128 v[49:52], v28 offset:80
	ds_load_2addr_b32 v[74:75], v59 offset0:192 offset1:224
	s_waitcnt lgkmcnt(14)
	v_mul_lo_u32 v77, v17, v60
	s_waitcnt lgkmcnt(12)
	v_mul_lo_u32 v78, v35, v55
	;; [unrolled: 2-line block ×3, first 2 shown]
	v_mul_lo_u32 v76, v19, v53
	v_mul_lo_u32 v19, v36, v56
	ds_load_2addr_b32 v[35:36], v59 offset0:128 offset1:160
	v_mul_lo_u32 v17, v20, v54
	s_waitcnt lgkmcnt(10)
	v_mul_lo_u32 v20, v40, v58
	s_waitcnt lgkmcnt(6)
	v_mul_lo_u32 v68, v41, v68
	v_add_nc_u32_e32 v41, 0xc00, v27
	v_mul_lo_u32 v79, v39, v57
	v_mul_lo_u32 v64, v37, v64
	;; [unrolled: 1-line block ×4, first 2 shown]
	s_waitcnt lgkmcnt(4)
	v_mul_lo_u32 v70, v47, v70
	v_mul_lo_u32 v37, v48, v71
	ds_load_2addr_b32 v[39:40], v41 offset1:32
	ds_load_2addr_b32 v[43:44], v41 offset0:64 offset1:96
	ds_load_b128 v[53:56], v28 offset:96
	ds_load_2addr_b32 v[47:48], v41 offset0:192 offset1:224
	ds_load_b128 v[57:60], v28 offset:112
	v_mad_u64_u32 v[66:67], null, v18, v61, v[17:18]
	v_mad_u64_u32 v[17:18], null, v34, v63, v[19:20]
	s_waitcnt lgkmcnt(6)
	v_mul_lo_u32 v18, v52, v75
	v_mul_lo_u32 v61, v51, v74
	;; [unrolled: 1-line block ×3, first 2 shown]
	s_waitcnt lgkmcnt(5)
	v_mul_lo_u32 v49, v49, v35
	v_mad_u64_u32 v[34:35], null, v38, v65, v[20:21]
	ds_load_2addr_b32 v[19:20], v41 offset0:128 offset1:160
	v_add3_u32 v38, v62, v78, v17
	v_add3_u32 v35, v77, v76, v66
	v_mad_u64_u32 v[51:52], null, v42, v69, v[33:34]
	v_add3_u32 v34, v64, v79, v34
	s_waitcnt lgkmcnt(3)
	v_mul_lo_u32 v17, v56, v44
	v_mad_u64_u32 v[41:42], null, v46, v73, v[37:38]
	s_waitcnt lgkmcnt(1)
	v_mul_lo_u32 v33, v60, v48
	v_add3_u32 v38, v35, v38, v34
	v_mul_lo_u32 v37, v55, v43
	v_mul_lo_u32 v39, v53, v39
	v_add3_u32 v42, v68, v80, v51
	v_add3_u32 v41, v45, v70, v41
	s_waitcnt lgkmcnt(0)
	v_mad_u64_u32 v[34:35], null, v50, v36, v[18:19]
	v_mad_u64_u32 v[35:36], null, v54, v40, v[17:18]
	v_mul_lo_u32 v36, v59, v47
	v_mul_lo_u32 v19, v57, v19
	v_add3_u32 v38, v38, v42, v41
	v_mad_u64_u32 v[17:18], null, v58, v20, v[33:34]
	v_add3_u32 v18, v49, v61, v34
	v_add3_u32 v20, v39, v37, v35
	s_delay_alu instid0(VALU_DEP_1) | instskip(NEXT) | instid1(VALU_DEP_4)
	v_add3_u32 v18, v38, v18, v20
	v_add3_u32 v17, v19, v36, v17
	s_delay_alu instid0(VALU_DEP_1)
	v_add3_u32 v0, v18, v17, v0
	s_branch .LBB1_20
.LBB1_38:                               ;   in Loop: Header=BB1_21 Depth=3
	s_mov_b32 s49, -1
	s_mov_b32 s48, 0
                                        ; implicit-def: $vgpr17_vgpr18
	s_cbranch_execnz .LBB1_33
	s_branch .LBB1_34
.LBB1_39:                               ;   in Loop: Header=BB1_16 Depth=1
	v_mov_b32_e32 v0, 0
.LBB1_40:                               ;   in Loop: Header=BB1_16 Depth=1
	v_add_co_u32 v13, vcc_lo, v9, s2
	v_add_co_ci_u32_e32 v14, vcc_lo, s3, v10, vcc_lo
	s_and_b32 vcc_lo, exec_lo, s40
	s_cbranch_vccz .LBB1_42
; %bb.41:                               ;   in Loop: Header=BB1_16 Depth=1
	s_delay_alu instid0(VALU_DEP_2) | instskip(SKIP_2) | instid1(VALU_DEP_1)
	v_mad_u64_u32 v[11:12], null, v13, s10, v[1:2]
	v_mul_lo_u32 v15, v13, s11
	v_mul_lo_u32 v16, v14, s10
	v_add3_u32 v12, v16, v12, v15
	s_cbranch_execz .LBB1_43
	s_branch .LBB1_44
.LBB1_42:                               ;   in Loop: Header=BB1_16 Depth=1
                                        ; implicit-def: $vgpr11_vgpr12
.LBB1_43:                               ;   in Loop: Header=BB1_16 Depth=1
	s_delay_alu instid0(VALU_DEP_2) | instskip(NEXT) | instid1(VALU_DEP_2)
	v_add_co_u32 v11, vcc_lo, v13, v3
	v_add_co_ci_u32_e32 v12, vcc_lo, v14, v4, vcc_lo
.LBB1_44:                               ;   in Loop: Header=BB1_16 Depth=1
	v_cmp_gt_i64_e32 vcc_lo, s[12:13], v[9:10]
	s_and_b32 s30, s41, vcc_lo
	s_delay_alu instid0(SALU_CYCLE_1)
	s_and_saveexec_b32 s1, s30
	s_cbranch_execz .LBB1_15
; %bb.45:                               ;   in Loop: Header=BB1_16 Depth=1
	v_mul_lo_u32 v0, v0, s33
	v_lshlrev_b64 v[9:10], 2, v[11:12]
	s_and_b32 vcc_lo, exec_lo, s42
	s_cbranch_vccz .LBB1_47
; %bb.46:                               ;   in Loop: Header=BB1_16 Depth=1
	s_delay_alu instid0(VALU_DEP_1) | instskip(NEXT) | instid1(VALU_DEP_2)
	v_add_co_u32 v11, vcc_lo, s8, v9
	v_add_co_ci_u32_e32 v12, vcc_lo, s9, v10, vcc_lo
	global_load_b32 v15, v[11:12], off
	s_waitcnt vmcnt(0)
	v_mad_u64_u32 v[13:14], null, v15, s36, v[0:1]
	global_store_b32 v[11:12], v13, off
	s_cbranch_execnz .LBB1_15
	s_branch .LBB1_48
.LBB1_47:                               ;   in Loop: Header=BB1_16 Depth=1
.LBB1_48:                               ;   in Loop: Header=BB1_16 Depth=1
	s_delay_alu instid0(VALU_DEP_1) | instskip(NEXT) | instid1(VALU_DEP_2)
	v_add_co_u32 v9, vcc_lo, s8, v9
	v_add_co_ci_u32_e32 v10, vcc_lo, s9, v10, vcc_lo
	global_store_b32 v[9:10], v0, off
	s_branch .LBB1_15
.LBB1_49:
	s_nop 0
	s_sendmsg sendmsg(MSG_DEALLOC_VGPRS)
	s_endpgm
.LBB1_50:
                                        ; implicit-def: $sgpr26_sgpr27
	s_branch .LBB1_12
	.section	.rodata,"a",@progbits
	.p2align	6, 0x0
	.amdhsa_kernel _ZN9rocsparseL30bellmm_general_blockdim_kernelILi32ELi32EiliiiEEv20rocsparse_operation_S1_20rocsparse_direction_T2_S3_NS_24const_host_device_scalarIT1_EES3_S3_PKS3_PKT3_PKT4_l16rocsparse_order_S6_PT5_lSF_21rocsparse_index_base_b
		.amdhsa_group_segment_fixed_size 8192
		.amdhsa_private_segment_fixed_size 0
		.amdhsa_kernarg_size 132
		.amdhsa_user_sgpr_count 14
		.amdhsa_user_sgpr_dispatch_ptr 0
		.amdhsa_user_sgpr_queue_ptr 0
		.amdhsa_user_sgpr_kernarg_segment_ptr 1
		.amdhsa_user_sgpr_dispatch_id 0
		.amdhsa_user_sgpr_private_segment_size 0
		.amdhsa_wavefront_size32 1
		.amdhsa_uses_dynamic_stack 0
		.amdhsa_enable_private_segment 0
		.amdhsa_system_sgpr_workgroup_id_x 1
		.amdhsa_system_sgpr_workgroup_id_y 1
		.amdhsa_system_sgpr_workgroup_id_z 0
		.amdhsa_system_sgpr_workgroup_info 0
		.amdhsa_system_vgpr_workitem_id 1
		.amdhsa_next_free_vgpr 81
		.amdhsa_next_free_sgpr 52
		.amdhsa_reserve_vcc 1
		.amdhsa_float_round_mode_32 0
		.amdhsa_float_round_mode_16_64 0
		.amdhsa_float_denorm_mode_32 3
		.amdhsa_float_denorm_mode_16_64 3
		.amdhsa_dx10_clamp 1
		.amdhsa_ieee_mode 1
		.amdhsa_fp16_overflow 0
		.amdhsa_workgroup_processor_mode 1
		.amdhsa_memory_ordered 1
		.amdhsa_forward_progress 0
		.amdhsa_shared_vgpr_count 0
		.amdhsa_exception_fp_ieee_invalid_op 0
		.amdhsa_exception_fp_denorm_src 0
		.amdhsa_exception_fp_ieee_div_zero 0
		.amdhsa_exception_fp_ieee_overflow 0
		.amdhsa_exception_fp_ieee_underflow 0
		.amdhsa_exception_fp_ieee_inexact 0
		.amdhsa_exception_int_div_zero 0
	.end_amdhsa_kernel
	.section	.text._ZN9rocsparseL30bellmm_general_blockdim_kernelILi32ELi32EiliiiEEv20rocsparse_operation_S1_20rocsparse_direction_T2_S3_NS_24const_host_device_scalarIT1_EES3_S3_PKS3_PKT3_PKT4_l16rocsparse_order_S6_PT5_lSF_21rocsparse_index_base_b,"axG",@progbits,_ZN9rocsparseL30bellmm_general_blockdim_kernelILi32ELi32EiliiiEEv20rocsparse_operation_S1_20rocsparse_direction_T2_S3_NS_24const_host_device_scalarIT1_EES3_S3_PKS3_PKT3_PKT4_l16rocsparse_order_S6_PT5_lSF_21rocsparse_index_base_b,comdat
.Lfunc_end1:
	.size	_ZN9rocsparseL30bellmm_general_blockdim_kernelILi32ELi32EiliiiEEv20rocsparse_operation_S1_20rocsparse_direction_T2_S3_NS_24const_host_device_scalarIT1_EES3_S3_PKS3_PKT3_PKT4_l16rocsparse_order_S6_PT5_lSF_21rocsparse_index_base_b, .Lfunc_end1-_ZN9rocsparseL30bellmm_general_blockdim_kernelILi32ELi32EiliiiEEv20rocsparse_operation_S1_20rocsparse_direction_T2_S3_NS_24const_host_device_scalarIT1_EES3_S3_PKS3_PKT3_PKT4_l16rocsparse_order_S6_PT5_lSF_21rocsparse_index_base_b
                                        ; -- End function
	.section	.AMDGPU.csdata,"",@progbits
; Kernel info:
; codeLenInByte = 3204
; NumSgprs: 54
; NumVgprs: 81
; ScratchSize: 0
; MemoryBound: 0
; FloatMode: 240
; IeeeMode: 1
; LDSByteSize: 8192 bytes/workgroup (compile time only)
; SGPRBlocks: 6
; VGPRBlocks: 10
; NumSGPRsForWavesPerEU: 54
; NumVGPRsForWavesPerEU: 81
; Occupancy: 16
; WaveLimiterHint : 1
; COMPUTE_PGM_RSRC2:SCRATCH_EN: 0
; COMPUTE_PGM_RSRC2:USER_SGPR: 14
; COMPUTE_PGM_RSRC2:TRAP_HANDLER: 0
; COMPUTE_PGM_RSRC2:TGID_X_EN: 1
; COMPUTE_PGM_RSRC2:TGID_Y_EN: 1
; COMPUTE_PGM_RSRC2:TGID_Z_EN: 0
; COMPUTE_PGM_RSRC2:TIDIG_COMP_CNT: 1
	.section	.text._ZN9rocsparseL30bellmm_general_blockdim_kernelILi32ELi32EfifffEEv20rocsparse_operation_S1_20rocsparse_direction_T2_S3_NS_24const_host_device_scalarIT1_EES3_S3_PKS3_PKT3_PKT4_l16rocsparse_order_S6_PT5_lSF_21rocsparse_index_base_b,"axG",@progbits,_ZN9rocsparseL30bellmm_general_blockdim_kernelILi32ELi32EfifffEEv20rocsparse_operation_S1_20rocsparse_direction_T2_S3_NS_24const_host_device_scalarIT1_EES3_S3_PKS3_PKT3_PKT4_l16rocsparse_order_S6_PT5_lSF_21rocsparse_index_base_b,comdat
	.globl	_ZN9rocsparseL30bellmm_general_blockdim_kernelILi32ELi32EfifffEEv20rocsparse_operation_S1_20rocsparse_direction_T2_S3_NS_24const_host_device_scalarIT1_EES3_S3_PKS3_PKT3_PKT4_l16rocsparse_order_S6_PT5_lSF_21rocsparse_index_base_b ; -- Begin function _ZN9rocsparseL30bellmm_general_blockdim_kernelILi32ELi32EfifffEEv20rocsparse_operation_S1_20rocsparse_direction_T2_S3_NS_24const_host_device_scalarIT1_EES3_S3_PKS3_PKT3_PKT4_l16rocsparse_order_S6_PT5_lSF_21rocsparse_index_base_b
	.p2align	8
	.type	_ZN9rocsparseL30bellmm_general_blockdim_kernelILi32ELi32EfifffEEv20rocsparse_operation_S1_20rocsparse_direction_T2_S3_NS_24const_host_device_scalarIT1_EES3_S3_PKS3_PKT3_PKT4_l16rocsparse_order_S6_PT5_lSF_21rocsparse_index_base_b,@function
_ZN9rocsparseL30bellmm_general_blockdim_kernelILi32ELi32EfifffEEv20rocsparse_operation_S1_20rocsparse_direction_T2_S3_NS_24const_host_device_scalarIT1_EES3_S3_PKS3_PKT3_PKT4_l16rocsparse_order_S6_PT5_lSF_21rocsparse_index_base_b: ; @_ZN9rocsparseL30bellmm_general_blockdim_kernelILi32ELi32EfifffEEv20rocsparse_operation_S1_20rocsparse_direction_T2_S3_NS_24const_host_device_scalarIT1_EES3_S3_PKS3_PKT3_PKT4_l16rocsparse_order_S6_PT5_lSF_21rocsparse_index_base_b
; %bb.0:
	s_clause 0x2
	s_load_b128 s[16:19], s[0:1], 0x68
	s_load_b64 s[2:3], s[0:1], 0x18
	s_load_b64 s[12:13], s[0:1], 0x50
	s_waitcnt lgkmcnt(0)
	s_bitcmp1_b32 s18, 0
	s_cselect_b32 s4, -1, 0
	s_delay_alu instid0(SALU_CYCLE_1)
	s_and_b32 vcc_lo, exec_lo, s4
	s_xor_b32 s4, s4, -1
	s_cbranch_vccnz .LBB2_2
; %bb.1:
	s_load_b32 s2, s[2:3], 0x0
.LBB2_2:
	s_and_not1_b32 vcc_lo, exec_lo, s4
	s_cbranch_vccnz .LBB2_4
; %bb.3:
	s_load_b32 s12, s[12:13], 0x0
.LBB2_4:
	s_waitcnt lgkmcnt(0)
	v_cmp_eq_f32_e64 s3, s2, 0
	v_cmp_eq_f32_e64 s4, s12, 1.0
	s_delay_alu instid0(VALU_DEP_1) | instskip(NEXT) | instid1(SALU_CYCLE_1)
	s_and_b32 s3, s3, s4
	s_and_b32 vcc_lo, exec_lo, s3
	s_mov_b32 s3, 0
	s_cbranch_vccnz .LBB2_46
; %bb.5:
	s_clause 0x1
	s_load_b128 s[20:23], s[0:1], 0x4
	s_load_b64 s[18:19], s[0:1], 0x20
	s_waitcnt lgkmcnt(0)
	s_cmp_lt_i32 s14, s22
	s_cselect_b32 s28, -1, 0
	s_cmp_ge_i32 s14, s22
	s_cbranch_scc1 .LBB2_7
; %bb.6:
	s_abs_i32 s3, s19
	s_abs_i32 s6, s18
	v_cvt_f32_u32_e32 v1, s3
	s_sub_i32 s5, 0, s3
	s_delay_alu instid0(VALU_DEP_1) | instskip(SKIP_2) | instid1(VALU_DEP_1)
	v_rcp_iflag_f32_e32 v1, v1
	s_waitcnt_depctr 0xfff
	v_mul_f32_e32 v1, 0x4f7ffffe, v1
	v_cvt_u32_f32_e32 v1, v1
	s_delay_alu instid0(VALU_DEP_1) | instskip(NEXT) | instid1(VALU_DEP_1)
	v_readfirstlane_b32 s4, v1
	s_mul_i32 s5, s5, s4
	s_delay_alu instid0(SALU_CYCLE_1) | instskip(NEXT) | instid1(SALU_CYCLE_1)
	s_mul_hi_u32 s5, s4, s5
	s_add_i32 s4, s4, s5
	s_xor_b32 s5, s18, s19
	s_mul_hi_u32 s4, s6, s4
	s_ashr_i32 s5, s5, 31
	s_mul_i32 s7, s4, s3
	s_delay_alu instid0(SALU_CYCLE_1)
	s_sub_i32 s6, s6, s7
	s_add_i32 s7, s4, 1
	s_sub_i32 s8, s6, s3
	s_cmp_ge_u32 s6, s3
	s_cselect_b32 s4, s7, s4
	s_cselect_b32 s6, s8, s6
	s_add_i32 s7, s4, 1
	s_cmp_ge_u32 s6, s3
	s_cselect_b32 s3, s7, s4
	s_delay_alu instid0(SALU_CYCLE_1) | instskip(NEXT) | instid1(SALU_CYCLE_1)
	s_xor_b32 s3, s3, s5
	s_sub_i32 s3, s3, s5
.LBB2_7:
	s_cmp_lt_i32 s19, 1
	s_cbranch_scc1 .LBB2_46
; %bb.8:
	s_load_b256 s[4:11], s[0:1], 0x28
	v_bfe_u32 v1, v0, 10, 10
	v_and_b32_e32 v0, 0x3ff, v0
	s_clause 0x1
	s_load_b32 s29, s[0:1], 0x48
	s_load_b128 s[24:27], s[0:1], 0x58
	s_mul_i32 s13, s14, s19
	s_cmp_gt_i32 s3, 0
	v_lshl_add_u32 v2, s15, 5, v1
	v_lshlrev_b32_e32 v4, 5, v1
	s_cselect_b32 s18, -1, 0
	s_cmpk_eq_i32 s20, 0x6f
	v_lshlrev_b32_e32 v19, 2, v0
	v_ashrrev_i32_e32 v3, 31, v2
	v_add_lshl_u32 v13, v4, v0, 2
	s_cselect_b32 s1, -1, 0
	v_cmp_gt_i32_e64 s0, s23, v2
	v_lshl_add_u32 v20, v1, 7, 0x1000
	v_lshlrev_b64 v[8:9], 2, v[2:3]
	v_add_nc_u32_e32 v14, 0x1000, v13
	s_mov_b32 s15, 0
	s_waitcnt lgkmcnt(0)
	v_mul_lo_u32 v4, v3, s10
	v_mul_lo_u32 v5, v2, s11
	v_mad_u64_u32 v[6:7], null, v2, s10, 0
	v_mul_lo_u32 v10, v3, s26
	v_mul_lo_u32 v11, v2, s27
	v_add_co_u32 v15, vcc_lo, s8, v8
	v_add_nc_u32_e32 v8, s13, v0
	v_add_co_ci_u32_e32 v16, vcc_lo, s9, v9, vcc_lo
	v_add3_u32 v7, v7, v5, v4
	v_mad_u64_u32 v[4:5], null, v2, s26, 0
	s_cmp_lg_u32 s29, 1
	s_delay_alu instid0(VALU_DEP_2) | instskip(SKIP_4) | instid1(VALU_DEP_1)
	v_lshlrev_b64 v[6:7], 2, v[6:7]
	s_cselect_b32 s23, -1, 0
	s_cmp_lg_u32 s21, 0
	s_cselect_b32 s20, -1, 0
	s_cmp_lg_u32 s16, 1
	v_add_co_u32 v17, vcc_lo, s8, v6
	v_add_co_ci_u32_e32 v18, vcc_lo, s9, v7, vcc_lo
	v_mad_u64_u32 v[6:7], null, s19, v8, v[1:2]
	v_mov_b32_e32 v8, 0
	v_add3_u32 v5, v5, v11, v10
	v_cmp_neq_f32_e64 s16, s12, 0
	v_add_nc_u32_e32 v21, 0x400, v19
	v_add_nc_u32_e32 v22, 0x800, v19
	;; [unrolled: 1-line block ×3, first 2 shown]
	s_cselect_b32 s8, -1, 0
	s_and_b32 s9, s28, s0
	s_xor_b32 s1, s1, s23
	s_mul_i32 s28, s19, s19
	s_xor_b32 s21, s1, -1
	s_lshl_b32 s23, s19, 5
	s_mul_i32 s28, s28, s22
	s_branch .LBB2_10
.LBB2_9:                                ;   in Loop: Header=BB2_10 Depth=1
	s_or_b32 exec_lo, exec_lo, s1
	v_add_nc_u32_e32 v6, s23, v6
	s_add_i32 s15, s15, 32
	s_delay_alu instid0(SALU_CYCLE_1)
	s_cmp_lt_i32 s15, s19
	s_cbranch_scc0 .LBB2_46
.LBB2_10:                               ; =>This Loop Header: Depth=1
                                        ;     Child Loop BB2_13 Depth 2
                                        ;       Child Loop BB2_15 Depth 3
	v_dual_mov_b32 v24, v8 :: v_dual_add_nc_u32 v9, s15, v0
	s_and_not1_b32 vcc_lo, exec_lo, s18
	s_delay_alu instid0(VALU_DEP_1)
	v_cmp_gt_i32_e64 s1, s19, v9
	s_cbranch_vccnz .LBB2_37
; %bb.11:                               ;   in Loop: Header=BB2_10 Depth=1
	v_dual_mov_b32 v24, 0 :: v_dual_mov_b32 v25, v6
	s_mov_b32 s29, 0
	s_branch .LBB2_13
.LBB2_12:                               ;   in Loop: Header=BB2_13 Depth=2
	v_add_nc_u32_e32 v25, s28, v25
	s_add_i32 s29, s29, 1
	s_delay_alu instid0(SALU_CYCLE_1)
	s_cmp_eq_u32 s29, s3
	s_cbranch_scc1 .LBB2_37
.LBB2_13:                               ;   Parent Loop BB2_10 Depth=1
                                        ; =>  This Loop Header: Depth=2
                                        ;       Child Loop BB2_15 Depth 3
	s_mul_i32 s30, s29, s22
	s_mov_b32 s33, 0
	s_add_i32 s34, s30, s14
	s_delay_alu instid0(SALU_CYCLE_1) | instskip(NEXT) | instid1(SALU_CYCLE_1)
	s_ashr_i32 s35, s34, 31
	s_lshl_b64 s[30:31], s[34:35], 2
	s_delay_alu instid0(SALU_CYCLE_1)
	s_add_u32 s30, s4, s30
	s_addc_u32 s31, s5, s31
	s_load_b32 s30, s[30:31], 0x0
	s_mul_i32 s31, s34, s19
	s_waitcnt lgkmcnt(0)
	s_sub_i32 s30, s30, s17
	s_delay_alu instid0(SALU_CYCLE_1)
	v_mad_u64_u32 v[10:11], null, s30, s19, v[0:1]
	s_cmp_gt_i32 s30, -1
	s_cselect_b32 s30, -1, 0
	s_branch .LBB2_15
.LBB2_14:                               ;   in Loop: Header=BB2_15 Depth=3
	s_add_i32 s33, s33, 32
	s_delay_alu instid0(SALU_CYCLE_1)
	s_cmp_ge_i32 s33, s19
	s_barrier
	buffer_gl0_inv
	s_cbranch_scc1 .LBB2_12
.LBB2_15:                               ;   Parent Loop BB2_10 Depth=1
                                        ;     Parent Loop BB2_13 Depth=2
                                        ; =>    This Inner Loop Header: Depth=3
	v_add_nc_u32_e32 v7, s33, v0
	s_delay_alu instid0(VALU_DEP_1)
	v_cmp_gt_i32_e32 vcc_lo, s19, v7
	s_and_b32 s34, s0, vcc_lo
	s_and_b32 vcc_lo, exec_lo, s21
	s_and_b32 s36, s34, s30
	s_cbranch_vccz .LBB2_19
; %bb.16:                               ;   in Loop: Header=BB2_15 Depth=3
	s_mov_b32 s35, 0
	s_mov_b32 s34, 0
                                        ; implicit-def: $vgpr11_vgpr12
	s_and_saveexec_b32 s37, s36
	s_delay_alu instid0(SALU_CYCLE_1)
	s_xor_b32 s37, exec_lo, s37
; %bb.17:                               ;   in Loop: Header=BB2_15 Depth=3
	v_add_nc_u32_e32 v28, s33, v10
	s_mov_b32 s34, exec_lo
	s_delay_alu instid0(VALU_DEP_1) | instskip(NEXT) | instid1(VALU_DEP_1)
	v_mad_u64_u32 v[11:12], null, v28, s10, 0
	v_mov_b32_e32 v7, v12
	s_delay_alu instid0(VALU_DEP_1) | instskip(NEXT) | instid1(VALU_DEP_1)
	v_mad_u64_u32 v[26:27], null, v28, s11, v[7:8]
	v_mov_b32_e32 v12, v26
	s_delay_alu instid0(VALU_DEP_1) | instskip(NEXT) | instid1(VALU_DEP_1)
	v_lshlrev_b64 v[11:12], 2, v[11:12]
	v_add_co_u32 v11, vcc_lo, v15, v11
	s_delay_alu instid0(VALU_DEP_2)
	v_add_co_ci_u32_e32 v12, vcc_lo, v16, v12, vcc_lo
; %bb.18:                               ;   in Loop: Header=BB2_15 Depth=3
	s_or_b32 exec_lo, exec_lo, s37
	s_delay_alu instid0(SALU_CYCLE_1)
	s_and_b32 vcc_lo, exec_lo, s35
	s_cbranch_vccnz .LBB2_20
	s_branch .LBB2_23
.LBB2_19:                               ;   in Loop: Header=BB2_15 Depth=3
	s_mov_b32 s35, -1
	s_mov_b32 s34, 0
                                        ; implicit-def: $vgpr11_vgpr12
	s_cbranch_execz .LBB2_23
.LBB2_20:                               ;   in Loop: Header=BB2_15 Depth=3
                                        ; implicit-def: $vgpr11_vgpr12
	s_and_saveexec_b32 s35, s36
; %bb.21:                               ;   in Loop: Header=BB2_15 Depth=3
	v_add_nc_u32_e32 v7, s33, v10
	s_or_b32 s34, s34, exec_lo
	s_delay_alu instid0(VALU_DEP_1) | instskip(NEXT) | instid1(VALU_DEP_1)
	v_lshlrev_b64 v[11:12], 2, v[7:8]
	v_add_co_u32 v11, vcc_lo, v17, v11
	s_delay_alu instid0(VALU_DEP_2)
	v_add_co_ci_u32_e32 v12, vcc_lo, v18, v12, vcc_lo
; %bb.22:                               ;   in Loop: Header=BB2_15 Depth=3
	s_or_b32 exec_lo, exec_lo, s35
	s_mov_b32 s35, 0
.LBB2_23:                               ;   in Loop: Header=BB2_15 Depth=3
	s_delay_alu instid0(SALU_CYCLE_1)
	v_mov_b32_e32 v26, s35
	s_and_saveexec_b32 s35, s34
	s_cbranch_execz .LBB2_25
; %bb.24:                               ;   in Loop: Header=BB2_15 Depth=3
	global_load_b32 v26, v[11:12], off
.LBB2_25:                               ;   in Loop: Header=BB2_15 Depth=3
	s_or_b32 exec_lo, exec_lo, s35
	v_add_nc_u32_e32 v7, s33, v1
	s_waitcnt vmcnt(0)
	ds_store_b32 v14, v26
	v_cmp_gt_i32_e32 vcc_lo, s19, v7
	s_and_b32 s34, s1, vcc_lo
	s_and_b32 vcc_lo, exec_lo, s20
	s_and_b32 s36, s34, s30
	s_cbranch_vccz .LBB2_33
; %bb.26:                               ;   in Loop: Header=BB2_15 Depth=3
	s_mov_b32 s35, 0
	s_mov_b32 s34, 0
                                        ; implicit-def: $vgpr11
	s_and_saveexec_b32 s37, s36
	s_delay_alu instid0(SALU_CYCLE_1)
	s_xor_b32 s37, exec_lo, s37
; %bb.27:                               ;   in Loop: Header=BB2_15 Depth=3
	v_add_nc_u32_e32 v7, s31, v7
	s_mov_b32 s34, exec_lo
	s_delay_alu instid0(VALU_DEP_1)
	v_mad_u64_u32 v[11:12], null, v7, s19, v[9:10]
; %bb.28:                               ;   in Loop: Header=BB2_15 Depth=3
	s_or_b32 exec_lo, exec_lo, s37
	s_delay_alu instid0(SALU_CYCLE_1)
	s_and_b32 vcc_lo, exec_lo, s35
	s_cbranch_vccnz .LBB2_34
.LBB2_29:                               ;   in Loop: Header=BB2_15 Depth=3
	v_mov_b32_e32 v7, s35
	s_and_saveexec_b32 s35, s34
	s_cbranch_execz .LBB2_31
.LBB2_30:                               ;   in Loop: Header=BB2_15 Depth=3
	s_delay_alu instid0(VALU_DEP_2) | instskip(NEXT) | instid1(VALU_DEP_1)
	v_ashrrev_i32_e32 v12, 31, v11
	v_lshlrev_b64 v[11:12], 2, v[11:12]
	s_delay_alu instid0(VALU_DEP_1) | instskip(NEXT) | instid1(VALU_DEP_2)
	v_add_co_u32 v11, vcc_lo, s6, v11
	v_add_co_ci_u32_e32 v12, vcc_lo, s7, v12, vcc_lo
	global_load_b32 v7, v[11:12], off
.LBB2_31:                               ;   in Loop: Header=BB2_15 Depth=3
	s_or_b32 exec_lo, exec_lo, s35
	s_delay_alu instid0(SALU_CYCLE_1)
	s_and_not1_b32 vcc_lo, exec_lo, s30
	s_waitcnt vmcnt(0)
	ds_store_b32 v13, v7
	s_waitcnt lgkmcnt(0)
	s_waitcnt_vscnt null, 0x0
	s_barrier
	buffer_gl0_inv
	s_cbranch_vccnz .LBB2_14
; %bb.32:                               ;   in Loop: Header=BB2_15 Depth=3
	ds_load_2addr_b32 v[11:12], v19 offset1:32
	ds_load_b128 v[26:29], v20
	ds_load_2addr_b32 v[34:35], v19 offset0:64 offset1:96
	ds_load_b128 v[30:33], v20 offset:16
	ds_load_2addr_b32 v[36:37], v19 offset0:128 offset1:160
	s_waitcnt lgkmcnt(3)
	v_fmac_f32_e32 v24, v11, v26
	s_delay_alu instid0(VALU_DEP_1) | instskip(SKIP_3) | instid1(VALU_DEP_1)
	v_fmac_f32_e32 v24, v12, v27
	ds_load_2addr_b32 v[11:12], v19 offset0:192 offset1:224
	s_waitcnt lgkmcnt(3)
	v_fmac_f32_e32 v24, v34, v28
	v_fmac_f32_e32 v24, v35, v29
	ds_load_2addr_b32 v[34:35], v21 offset1:32
	ds_load_b128 v[26:29], v20 offset:32
	s_waitcnt lgkmcnt(3)
	v_fmac_f32_e32 v24, v36, v30
	s_delay_alu instid0(VALU_DEP_1) | instskip(SKIP_3) | instid1(VALU_DEP_1)
	v_fmac_f32_e32 v24, v37, v31
	ds_load_2addr_b32 v[36:37], v21 offset0:64 offset1:96
	s_waitcnt lgkmcnt(3)
	v_fmac_f32_e32 v24, v11, v32
	v_fmac_f32_e32 v24, v12, v33
	ds_load_b128 v[30:33], v20 offset:48
	ds_load_2addr_b32 v[11:12], v21 offset0:128 offset1:160
	s_waitcnt lgkmcnt(3)
	v_fmac_f32_e32 v24, v34, v26
	s_delay_alu instid0(VALU_DEP_1) | instskip(SKIP_3) | instid1(VALU_DEP_1)
	v_fmac_f32_e32 v24, v35, v27
	ds_load_2addr_b32 v[34:35], v21 offset0:192 offset1:224
	s_waitcnt lgkmcnt(3)
	v_fmac_f32_e32 v24, v36, v28
	v_fmac_f32_e32 v24, v37, v29
	ds_load_2addr_b32 v[36:37], v22 offset1:32
	ds_load_b128 v[26:29], v20 offset:64
	s_waitcnt lgkmcnt(3)
	v_fmac_f32_e32 v24, v11, v30
	s_delay_alu instid0(VALU_DEP_1) | instskip(SKIP_3) | instid1(VALU_DEP_1)
	v_fmac_f32_e32 v24, v12, v31
	ds_load_2addr_b32 v[11:12], v22 offset0:64 offset1:96
	s_waitcnt lgkmcnt(3)
	v_fmac_f32_e32 v24, v34, v32
	v_fmac_f32_e32 v24, v35, v33
	ds_load_2addr_b32 v[34:35], v22 offset0:128 offset1:160
	ds_load_b128 v[30:33], v20 offset:80
	s_waitcnt lgkmcnt(3)
	v_fmac_f32_e32 v24, v36, v26
	s_delay_alu instid0(VALU_DEP_1) | instskip(SKIP_3) | instid1(VALU_DEP_1)
	v_fmac_f32_e32 v24, v37, v27
	ds_load_2addr_b32 v[36:37], v22 offset0:192 offset1:224
	s_waitcnt lgkmcnt(3)
	v_fmac_f32_e32 v24, v11, v28
	v_fmac_f32_e32 v24, v12, v29
	ds_load_2addr_b32 v[11:12], v23 offset1:32
	ds_load_b128 v[26:29], v20 offset:96
	s_waitcnt lgkmcnt(3)
	v_fmac_f32_e32 v24, v34, v30
	s_delay_alu instid0(VALU_DEP_1) | instskip(SKIP_3) | instid1(VALU_DEP_1)
	v_fmac_f32_e32 v24, v35, v31
	ds_load_2addr_b32 v[34:35], v23 offset0:64 offset1:96
	s_waitcnt lgkmcnt(3)
	v_fmac_f32_e32 v24, v36, v32
	v_fmac_f32_e32 v24, v37, v33
	ds_load_b128 v[30:33], v20 offset:112
	ds_load_2addr_b32 v[36:37], v23 offset0:128 offset1:160
	s_waitcnt lgkmcnt(3)
	v_fmac_f32_e32 v24, v11, v26
	s_delay_alu instid0(VALU_DEP_1) | instskip(SKIP_3) | instid1(VALU_DEP_1)
	v_fmac_f32_e32 v24, v12, v27
	ds_load_2addr_b32 v[11:12], v23 offset0:192 offset1:224
	s_waitcnt lgkmcnt(3)
	v_fmac_f32_e32 v24, v34, v28
	v_fmac_f32_e32 v24, v35, v29
	s_waitcnt lgkmcnt(1)
	s_delay_alu instid0(VALU_DEP_1) | instskip(NEXT) | instid1(VALU_DEP_1)
	v_fmac_f32_e32 v24, v36, v30
	v_fmac_f32_e32 v24, v37, v31
	s_waitcnt lgkmcnt(0)
	s_delay_alu instid0(VALU_DEP_1) | instskip(NEXT) | instid1(VALU_DEP_1)
	v_fmac_f32_e32 v24, v11, v32
	v_fmac_f32_e32 v24, v12, v33
	s_branch .LBB2_14
.LBB2_33:                               ;   in Loop: Header=BB2_15 Depth=3
	s_mov_b32 s35, -1
	s_mov_b32 s34, 0
                                        ; implicit-def: $vgpr11
	s_cbranch_execz .LBB2_29
.LBB2_34:                               ;   in Loop: Header=BB2_15 Depth=3
                                        ; implicit-def: $vgpr11
	s_and_saveexec_b32 s35, s36
; %bb.35:                               ;   in Loop: Header=BB2_15 Depth=3
	v_add_nc_u32_e32 v11, s33, v25
	s_or_b32 s34, s34, exec_lo
; %bb.36:                               ;   in Loop: Header=BB2_15 Depth=3
	s_or_b32 exec_lo, exec_lo, s35
	s_mov_b32 s35, 0
	s_delay_alu instid0(SALU_CYCLE_1)
	v_mov_b32_e32 v7, s35
	s_and_saveexec_b32 s35, s34
	s_cbranch_execnz .LBB2_30
	s_branch .LBB2_31
.LBB2_37:                               ;   in Loop: Header=BB2_10 Depth=1
	v_add_nc_u32_e32 v7, s13, v9
	s_and_b32 vcc_lo, exec_lo, s8
	s_delay_alu instid0(VALU_DEP_1)
	v_ashrrev_i32_e32 v12, 31, v7
	s_cbranch_vccz .LBB2_39
; %bb.38:                               ;   in Loop: Header=BB2_10 Depth=1
	v_mad_u64_u32 v[10:11], null, v7, s26, v[2:3]
	v_mul_lo_u32 v25, v7, s27
	s_delay_alu instid0(VALU_DEP_3) | instskip(NEXT) | instid1(VALU_DEP_1)
	v_mul_lo_u32 v26, v12, s26
	v_add3_u32 v11, v26, v11, v25
	s_cbranch_execz .LBB2_40
	s_branch .LBB2_41
.LBB2_39:                               ;   in Loop: Header=BB2_10 Depth=1
                                        ; implicit-def: $vgpr10_vgpr11
.LBB2_40:                               ;   in Loop: Header=BB2_10 Depth=1
	v_add_co_u32 v10, vcc_lo, v4, v7
	s_delay_alu instid0(VALU_DEP_2)
	v_add_co_ci_u32_e32 v11, vcc_lo, v5, v12, vcc_lo
.LBB2_41:                               ;   in Loop: Header=BB2_10 Depth=1
	v_cmp_gt_i32_e32 vcc_lo, s19, v9
	s_and_b32 s29, s9, vcc_lo
	s_delay_alu instid0(SALU_CYCLE_1)
	s_and_saveexec_b32 s1, s29
	s_cbranch_execz .LBB2_9
; %bb.42:                               ;   in Loop: Header=BB2_10 Depth=1
	v_lshlrev_b64 v[9:10], 2, v[10:11]
	v_mul_f32_e32 v7, s2, v24
	s_and_b32 vcc_lo, exec_lo, s16
	s_cbranch_vccz .LBB2_44
; %bb.43:                               ;   in Loop: Header=BB2_10 Depth=1
	s_delay_alu instid0(VALU_DEP_2) | instskip(NEXT) | instid1(VALU_DEP_3)
	v_add_co_u32 v11, vcc_lo, s24, v9
	v_add_co_ci_u32_e32 v12, vcc_lo, s25, v10, vcc_lo
	global_load_b32 v24, v[11:12], off
	s_waitcnt vmcnt(0)
	v_fma_f32 v24, s12, v24, v7
	global_store_b32 v[11:12], v24, off
	s_cbranch_execnz .LBB2_9
	s_branch .LBB2_45
.LBB2_44:                               ;   in Loop: Header=BB2_10 Depth=1
.LBB2_45:                               ;   in Loop: Header=BB2_10 Depth=1
	s_delay_alu instid0(VALU_DEP_2) | instskip(NEXT) | instid1(VALU_DEP_3)
	v_add_co_u32 v9, vcc_lo, s24, v9
	v_add_co_ci_u32_e32 v10, vcc_lo, s25, v10, vcc_lo
	global_store_b32 v[9:10], v7, off
	s_branch .LBB2_9
.LBB2_46:
	s_nop 0
	s_sendmsg sendmsg(MSG_DEALLOC_VGPRS)
	s_endpgm
	.section	.rodata,"a",@progbits
	.p2align	6, 0x0
	.amdhsa_kernel _ZN9rocsparseL30bellmm_general_blockdim_kernelILi32ELi32EfifffEEv20rocsparse_operation_S1_20rocsparse_direction_T2_S3_NS_24const_host_device_scalarIT1_EES3_S3_PKS3_PKT3_PKT4_l16rocsparse_order_S6_PT5_lSF_21rocsparse_index_base_b
		.amdhsa_group_segment_fixed_size 8192
		.amdhsa_private_segment_fixed_size 0
		.amdhsa_kernarg_size 116
		.amdhsa_user_sgpr_count 14
		.amdhsa_user_sgpr_dispatch_ptr 0
		.amdhsa_user_sgpr_queue_ptr 0
		.amdhsa_user_sgpr_kernarg_segment_ptr 1
		.amdhsa_user_sgpr_dispatch_id 0
		.amdhsa_user_sgpr_private_segment_size 0
		.amdhsa_wavefront_size32 1
		.amdhsa_uses_dynamic_stack 0
		.amdhsa_enable_private_segment 0
		.amdhsa_system_sgpr_workgroup_id_x 1
		.amdhsa_system_sgpr_workgroup_id_y 1
		.amdhsa_system_sgpr_workgroup_id_z 0
		.amdhsa_system_sgpr_workgroup_info 0
		.amdhsa_system_vgpr_workitem_id 1
		.amdhsa_next_free_vgpr 38
		.amdhsa_next_free_sgpr 38
		.amdhsa_reserve_vcc 1
		.amdhsa_float_round_mode_32 0
		.amdhsa_float_round_mode_16_64 0
		.amdhsa_float_denorm_mode_32 3
		.amdhsa_float_denorm_mode_16_64 3
		.amdhsa_dx10_clamp 1
		.amdhsa_ieee_mode 1
		.amdhsa_fp16_overflow 0
		.amdhsa_workgroup_processor_mode 1
		.amdhsa_memory_ordered 1
		.amdhsa_forward_progress 0
		.amdhsa_shared_vgpr_count 0
		.amdhsa_exception_fp_ieee_invalid_op 0
		.amdhsa_exception_fp_denorm_src 0
		.amdhsa_exception_fp_ieee_div_zero 0
		.amdhsa_exception_fp_ieee_overflow 0
		.amdhsa_exception_fp_ieee_underflow 0
		.amdhsa_exception_fp_ieee_inexact 0
		.amdhsa_exception_int_div_zero 0
	.end_amdhsa_kernel
	.section	.text._ZN9rocsparseL30bellmm_general_blockdim_kernelILi32ELi32EfifffEEv20rocsparse_operation_S1_20rocsparse_direction_T2_S3_NS_24const_host_device_scalarIT1_EES3_S3_PKS3_PKT3_PKT4_l16rocsparse_order_S6_PT5_lSF_21rocsparse_index_base_b,"axG",@progbits,_ZN9rocsparseL30bellmm_general_blockdim_kernelILi32ELi32EfifffEEv20rocsparse_operation_S1_20rocsparse_direction_T2_S3_NS_24const_host_device_scalarIT1_EES3_S3_PKS3_PKT3_PKT4_l16rocsparse_order_S6_PT5_lSF_21rocsparse_index_base_b,comdat
.Lfunc_end2:
	.size	_ZN9rocsparseL30bellmm_general_blockdim_kernelILi32ELi32EfifffEEv20rocsparse_operation_S1_20rocsparse_direction_T2_S3_NS_24const_host_device_scalarIT1_EES3_S3_PKS3_PKT3_PKT4_l16rocsparse_order_S6_PT5_lSF_21rocsparse_index_base_b, .Lfunc_end2-_ZN9rocsparseL30bellmm_general_blockdim_kernelILi32ELi32EfifffEEv20rocsparse_operation_S1_20rocsparse_direction_T2_S3_NS_24const_host_device_scalarIT1_EES3_S3_PKS3_PKT3_PKT4_l16rocsparse_order_S6_PT5_lSF_21rocsparse_index_base_b
                                        ; -- End function
	.section	.AMDGPU.csdata,"",@progbits
; Kernel info:
; codeLenInByte = 1936
; NumSgprs: 40
; NumVgprs: 38
; ScratchSize: 0
; MemoryBound: 0
; FloatMode: 240
; IeeeMode: 1
; LDSByteSize: 8192 bytes/workgroup (compile time only)
; SGPRBlocks: 4
; VGPRBlocks: 4
; NumSGPRsForWavesPerEU: 40
; NumVGPRsForWavesPerEU: 38
; Occupancy: 16
; WaveLimiterHint : 0
; COMPUTE_PGM_RSRC2:SCRATCH_EN: 0
; COMPUTE_PGM_RSRC2:USER_SGPR: 14
; COMPUTE_PGM_RSRC2:TRAP_HANDLER: 0
; COMPUTE_PGM_RSRC2:TGID_X_EN: 1
; COMPUTE_PGM_RSRC2:TGID_Y_EN: 1
; COMPUTE_PGM_RSRC2:TGID_Z_EN: 0
; COMPUTE_PGM_RSRC2:TIDIG_COMP_CNT: 1
	.section	.text._ZN9rocsparseL30bellmm_general_blockdim_kernelILi32ELi32EflfffEEv20rocsparse_operation_S1_20rocsparse_direction_T2_S3_NS_24const_host_device_scalarIT1_EES3_S3_PKS3_PKT3_PKT4_l16rocsparse_order_S6_PT5_lSF_21rocsparse_index_base_b,"axG",@progbits,_ZN9rocsparseL30bellmm_general_blockdim_kernelILi32ELi32EflfffEEv20rocsparse_operation_S1_20rocsparse_direction_T2_S3_NS_24const_host_device_scalarIT1_EES3_S3_PKS3_PKT3_PKT4_l16rocsparse_order_S6_PT5_lSF_21rocsparse_index_base_b,comdat
	.globl	_ZN9rocsparseL30bellmm_general_blockdim_kernelILi32ELi32EflfffEEv20rocsparse_operation_S1_20rocsparse_direction_T2_S3_NS_24const_host_device_scalarIT1_EES3_S3_PKS3_PKT3_PKT4_l16rocsparse_order_S6_PT5_lSF_21rocsparse_index_base_b ; -- Begin function _ZN9rocsparseL30bellmm_general_blockdim_kernelILi32ELi32EflfffEEv20rocsparse_operation_S1_20rocsparse_direction_T2_S3_NS_24const_host_device_scalarIT1_EES3_S3_PKS3_PKT3_PKT4_l16rocsparse_order_S6_PT5_lSF_21rocsparse_index_base_b
	.p2align	8
	.type	_ZN9rocsparseL30bellmm_general_blockdim_kernelILi32ELi32EflfffEEv20rocsparse_operation_S1_20rocsparse_direction_T2_S3_NS_24const_host_device_scalarIT1_EES3_S3_PKS3_PKT3_PKT4_l16rocsparse_order_S6_PT5_lSF_21rocsparse_index_base_b,@function
_ZN9rocsparseL30bellmm_general_blockdim_kernelILi32ELi32EflfffEEv20rocsparse_operation_S1_20rocsparse_direction_T2_S3_NS_24const_host_device_scalarIT1_EES3_S3_PKS3_PKT3_PKT4_l16rocsparse_order_S6_PT5_lSF_21rocsparse_index_base_b: ; @_ZN9rocsparseL30bellmm_general_blockdim_kernelILi32ELi32EflfffEEv20rocsparse_operation_S1_20rocsparse_direction_T2_S3_NS_24const_host_device_scalarIT1_EES3_S3_PKS3_PKT3_PKT4_l16rocsparse_order_S6_PT5_lSF_21rocsparse_index_base_b
; %bb.0:
	s_clause 0x2
	s_load_b128 s[28:31], s[0:1], 0x78
	s_load_b256 s[4:11], s[0:1], 0x10
	s_load_b64 s[12:13], s[0:1], 0x60
	s_mov_b32 s2, s15
	s_waitcnt lgkmcnt(0)
	s_bitcmp1_b32 s30, 0
	s_cselect_b32 s3, -1, 0
	s_delay_alu instid0(SALU_CYCLE_1)
	s_and_b32 vcc_lo, exec_lo, s3
	s_xor_b32 s3, s3, -1
	s_cbranch_vccnz .LBB3_2
; %bb.1:
	s_load_b32 s8, s[8:9], 0x0
.LBB3_2:
	s_and_not1_b32 vcc_lo, exec_lo, s3
	s_cbranch_vccnz .LBB3_4
; %bb.3:
	s_load_b32 s12, s[12:13], 0x0
.LBB3_4:
	s_waitcnt lgkmcnt(0)
	v_cmp_eq_f32_e64 s3, s8, 0
	v_cmp_eq_f32_e64 s9, s12, 1.0
	s_mov_b32 s15, 0
	s_delay_alu instid0(VALU_DEP_1) | instskip(NEXT) | instid1(SALU_CYCLE_1)
	s_and_b32 s3, s3, s9
	s_and_b32 vcc_lo, exec_lo, s3
	s_cbranch_vccnz .LBB3_45
; %bb.5:
	s_load_b64 s[30:31], s[0:1], 0x30
	v_cmp_ge_i64_e64 s3, s[14:15], s[4:5]
	v_cmp_lt_i64_e64 s36, s[14:15], s[4:5]
	s_mov_b64 s[34:35], 0
	s_delay_alu instid0(VALU_DEP_2)
	s_and_b32 vcc_lo, exec_lo, s3
	s_cbranch_vccnz .LBB3_9
; %bb.6:
	s_waitcnt lgkmcnt(0)
	s_or_b64 s[16:17], s[10:11], s[30:31]
	s_mov_b32 s16, 0
	s_delay_alu instid0(SALU_CYCLE_1)
	s_cmp_lg_u64 s[16:17], 0
	s_cbranch_scc0 .LBB3_46
; %bb.7:
	s_ashr_i32 s18, s31, 31
	s_delay_alu instid0(SALU_CYCLE_1) | instskip(SKIP_2) | instid1(SALU_CYCLE_1)
	s_add_u32 s20, s30, s18
	s_mov_b32 s19, s18
	s_addc_u32 s21, s31, s18
	s_xor_b64 s[20:21], s[20:21], s[18:19]
	s_delay_alu instid0(SALU_CYCLE_1) | instskip(SKIP_3) | instid1(VALU_DEP_1)
	v_cvt_f32_u32_e32 v1, s20
	v_cvt_f32_u32_e32 v2, s21
	s_sub_u32 s13, 0, s20
	s_subb_u32 s15, 0, s21
	v_fmamk_f32 v1, v2, 0x4f800000, v1
	s_delay_alu instid0(VALU_DEP_1) | instskip(SKIP_2) | instid1(VALU_DEP_1)
	v_rcp_f32_e32 v1, v1
	s_waitcnt_depctr 0xfff
	v_mul_f32_e32 v1, 0x5f7ffffc, v1
	v_mul_f32_e32 v2, 0x2f800000, v1
	s_delay_alu instid0(VALU_DEP_1) | instskip(NEXT) | instid1(VALU_DEP_1)
	v_trunc_f32_e32 v2, v2
	v_fmamk_f32 v1, v2, 0xcf800000, v1
	v_cvt_u32_f32_e32 v2, v2
	s_delay_alu instid0(VALU_DEP_2) | instskip(NEXT) | instid1(VALU_DEP_2)
	v_cvt_u32_f32_e32 v1, v1
	v_readfirstlane_b32 s3, v2
	s_delay_alu instid0(VALU_DEP_2) | instskip(NEXT) | instid1(VALU_DEP_2)
	v_readfirstlane_b32 s9, v1
	s_mul_i32 s17, s13, s3
	s_delay_alu instid0(VALU_DEP_1)
	s_mul_hi_u32 s23, s13, s9
	s_mul_i32 s22, s15, s9
	s_add_i32 s17, s23, s17
	s_mul_i32 s24, s13, s9
	s_add_i32 s17, s17, s22
	s_mul_hi_u32 s23, s9, s24
	s_mul_hi_u32 s25, s3, s24
	s_mul_i32 s22, s3, s24
	s_mul_hi_u32 s24, s9, s17
	s_mul_i32 s9, s9, s17
	s_mul_hi_u32 s26, s3, s17
	s_add_u32 s9, s23, s9
	s_addc_u32 s23, 0, s24
	s_add_u32 s9, s9, s22
	s_mul_i32 s17, s3, s17
	s_addc_u32 s9, s23, s25
	s_addc_u32 s22, s26, 0
	s_add_u32 s9, s9, s17
	s_addc_u32 s17, 0, s22
	v_add_co_u32 v1, s9, v1, s9
	s_delay_alu instid0(VALU_DEP_1) | instskip(SKIP_1) | instid1(VALU_DEP_1)
	s_cmp_lg_u32 s9, 0
	s_addc_u32 s3, s3, s17
	v_readfirstlane_b32 s9, v1
	s_mul_i32 s17, s13, s3
	s_delay_alu instid0(VALU_DEP_1)
	s_mul_hi_u32 s22, s13, s9
	s_mul_i32 s15, s15, s9
	s_add_i32 s17, s22, s17
	s_mul_i32 s13, s13, s9
	s_add_i32 s17, s17, s15
	s_mul_hi_u32 s22, s3, s13
	s_mul_i32 s23, s3, s13
	s_mul_hi_u32 s13, s9, s13
	s_mul_hi_u32 s24, s9, s17
	s_mul_i32 s9, s9, s17
	s_mul_hi_u32 s15, s3, s17
	s_add_u32 s9, s13, s9
	s_addc_u32 s13, 0, s24
	s_add_u32 s9, s9, s23
	s_mul_i32 s17, s3, s17
	s_addc_u32 s9, s13, s22
	s_addc_u32 s13, s15, 0
	s_add_u32 s9, s9, s17
	s_addc_u32 s13, 0, s13
	v_add_co_u32 v1, s9, v1, s9
	s_delay_alu instid0(VALU_DEP_1) | instskip(SKIP_2) | instid1(VALU_DEP_1)
	s_cmp_lg_u32 s9, 0
	s_addc_u32 s3, s3, s13
	s_ashr_i32 s22, s11, 31
	v_readfirstlane_b32 s9, v1
	s_add_u32 s24, s10, s22
	s_mov_b32 s23, s22
	s_addc_u32 s25, s11, s22
	s_delay_alu instid0(SALU_CYCLE_1) | instskip(NEXT) | instid1(SALU_CYCLE_1)
	s_xor_b64 s[24:25], s[24:25], s[22:23]
	s_mul_i32 s13, s24, s3
	s_mul_hi_u32 s15, s24, s9
	s_mul_hi_u32 s11, s24, s3
	;; [unrolled: 1-line block ×3, first 2 shown]
	s_mul_i32 s9, s25, s9
	s_add_u32 s13, s15, s13
	s_addc_u32 s11, 0, s11
	s_mul_hi_u32 s17, s25, s3
	s_add_u32 s9, s13, s9
	s_mul_i32 s3, s25, s3
	s_addc_u32 s9, s11, s26
	s_addc_u32 s11, s17, 0
	s_add_u32 s3, s9, s3
	s_addc_u32 s9, 0, s11
	s_mul_hi_u32 s11, s20, s3
	s_mul_i32 s15, s20, s9
	s_mul_i32 s17, s20, s3
	s_add_i32 s11, s11, s15
	v_sub_co_u32 v1, s15, s24, s17
	s_mul_i32 s13, s21, s3
	s_delay_alu instid0(SALU_CYCLE_1) | instskip(NEXT) | instid1(VALU_DEP_1)
	s_add_i32 s11, s11, s13
	v_sub_co_u32 v2, s17, v1, s20
	s_sub_i32 s13, s25, s11
	s_cmp_lg_u32 s15, 0
	s_subb_u32 s13, s13, s21
	s_cmp_lg_u32 s17, 0
	v_readfirstlane_b32 s17, v2
	s_subb_u32 s13, s13, 0
	s_delay_alu instid0(SALU_CYCLE_1) | instskip(SKIP_1) | instid1(VALU_DEP_1)
	s_cmp_ge_u32 s13, s21
	s_cselect_b32 s24, -1, 0
	s_cmp_ge_u32 s17, s20
	s_cselect_b32 s17, -1, 0
	s_cmp_eq_u32 s13, s21
	s_cselect_b32 s13, s17, s24
	s_add_u32 s17, s3, 1
	s_addc_u32 s24, s9, 0
	s_add_u32 s26, s3, 2
	s_addc_u32 s27, s9, 0
	s_cmp_lg_u32 s13, 0
	s_cselect_b32 s13, s26, s17
	s_cselect_b32 s17, s27, s24
	s_cmp_lg_u32 s15, 0
	v_readfirstlane_b32 s15, v1
	s_subb_u32 s11, s25, s11
	s_delay_alu instid0(SALU_CYCLE_1) | instskip(SKIP_1) | instid1(VALU_DEP_1)
	s_cmp_ge_u32 s11, s21
	s_cselect_b32 s24, -1, 0
	s_cmp_ge_u32 s15, s20
	s_cselect_b32 s15, -1, 0
	s_cmp_eq_u32 s11, s21
	s_cselect_b32 s11, s15, s24
	s_delay_alu instid0(SALU_CYCLE_1) | instskip(SKIP_3) | instid1(SALU_CYCLE_1)
	s_cmp_lg_u32 s11, 0
	s_cselect_b32 s21, s17, s9
	s_cselect_b32 s20, s13, s3
	s_xor_b64 s[18:19], s[22:23], s[18:19]
	s_xor_b64 s[20:21], s[20:21], s[18:19]
	s_delay_alu instid0(SALU_CYCLE_1)
	s_sub_u32 s34, s20, s18
	s_subb_u32 s35, s21, s19
	s_and_not1_b32 vcc_lo, exec_lo, s16
	s_cbranch_vccnz .LBB3_9
.LBB3_8:
	v_cvt_f32_u32_e32 v1, s30
	s_sub_i32 s9, 0, s30
	s_mov_b32 s35, 0
	s_delay_alu instid0(VALU_DEP_1) | instskip(SKIP_2) | instid1(VALU_DEP_1)
	v_rcp_iflag_f32_e32 v1, v1
	s_waitcnt_depctr 0xfff
	v_mul_f32_e32 v1, 0x4f7ffffe, v1
	v_cvt_u32_f32_e32 v1, v1
	s_delay_alu instid0(VALU_DEP_1) | instskip(NEXT) | instid1(VALU_DEP_1)
	v_readfirstlane_b32 s3, v1
	s_mul_i32 s9, s9, s3
	s_delay_alu instid0(SALU_CYCLE_1) | instskip(NEXT) | instid1(SALU_CYCLE_1)
	s_mul_hi_u32 s9, s3, s9
	s_add_i32 s3, s3, s9
	s_delay_alu instid0(SALU_CYCLE_1) | instskip(NEXT) | instid1(SALU_CYCLE_1)
	s_mul_hi_u32 s3, s10, s3
	s_mul_i32 s9, s3, s30
	s_delay_alu instid0(SALU_CYCLE_1)
	s_sub_i32 s9, s10, s9
	s_add_i32 s10, s3, 1
	s_sub_i32 s11, s9, s30
	s_cmp_ge_u32 s9, s30
	s_cselect_b32 s3, s10, s3
	s_cselect_b32 s9, s11, s9
	s_add_i32 s10, s3, 1
	s_cmp_ge_u32 s9, s30
	s_cselect_b32 s34, s10, s3
.LBB3_9:
	s_waitcnt lgkmcnt(0)
	v_cmp_lt_i64_e64 s3, s[30:31], 1
	s_delay_alu instid0(VALU_DEP_1)
	s_and_b32 vcc_lo, exec_lo, s3
	s_cbranch_vccnz .LBB3_45
; %bb.10:
	s_clause 0x1
	s_load_b256 s[16:23], s[0:1], 0x38
	s_load_b64 s[38:39], s[0:1], 0x4
	v_bfe_u32 v21, v0, 10, 10
	s_clause 0x1
	s_load_b128 s[24:27], s[0:1], 0x68
	s_load_b32 s0, s[0:1], 0x58
	s_lshl_b32 s2, s2, 5
	s_mul_i32 s9, s30, s31
	s_mul_hi_u32 s10, s30, s30
	v_add_co_u32 v1, s1, s2, v21
	s_delay_alu instid0(VALU_DEP_1) | instskip(SKIP_3) | instid1(VALU_DEP_2)
	v_add_co_ci_u32_e64 v2, null, 0, 0, s1
	s_mul_i32 s1, s14, s31
	s_mul_hi_u32 s2, s14, s30
	v_dual_mov_b32 v6, 0 :: v_dual_lshlrev_b32 v5, 5, v21
	v_lshlrev_b64 v[3:4], 2, v[1:2]
	v_and_b32_e32 v0, 0x3ff, v0
	s_add_i32 s3, s2, s1
	s_add_i32 s1, s10, s9
	s_mul_i32 s2, s14, s30
	s_waitcnt lgkmcnt(0)
	v_mul_lo_u32 v10, s23, v1
	v_mul_lo_u32 v11, s22, v2
	v_mad_u64_u32 v[7:8], null, s22, v1, 0
	s_add_i32 s9, s1, s9
	s_cmpk_eq_i32 s38, 0x6f
	v_add_co_u32 v22, vcc_lo, s20, v3
	s_cselect_b32 s1, -1, 0
	s_cmp_lg_u32 s0, 1
	v_add_co_ci_u32_e32 v23, vcc_lo, s21, v4, vcc_lo
	v_add_lshl_u32 v24, v5, v0, 2
	v_mul_lo_u32 v5, v2, s26
	v_mul_lo_u32 v9, v1, s27
	v_mad_u64_u32 v[3:4], null, v1, s26, 0
	v_cmp_gt_i64_e64 s0, s[6:7], v[1:2]
	s_cselect_b32 s6, -1, 0
	s_cmp_lg_u32 s39, 0
	v_add3_u32 v8, v8, v11, v10
	v_lshlrev_b32_e32 v26, 2, v0
	s_cselect_b32 s33, -1, 0
	s_cmp_lg_u32 s28, 1
	v_add3_u32 v4, v4, v9, v5
	s_cselect_b32 s40, -1, 0
	s_xor_b32 s1, s1, s6
	s_lshl_b64 s[6:7], s[2:3], 2
	v_lshlrev_b64 v[7:8], 2, v[7:8]
	s_xor_b32 s43, s1, -1
	v_add_co_u32 v9, s1, s6, v26
	s_delay_alu instid0(VALU_DEP_1) | instskip(SKIP_1) | instid1(VALU_DEP_4)
	v_add_co_ci_u32_e64 v10, null, s7, 0, s1
	v_lshlrev_b32_e32 v5, 2, v21
	v_add_co_u32 v11, vcc_lo, v7, v26
	v_add_co_ci_u32_e32 v12, vcc_lo, 0, v8, vcc_lo
	s_delay_alu instid0(VALU_DEP_4)
	v_mul_lo_u32 v10, s30, v10
	v_mul_lo_u32 v13, s31, v9
	v_mad_u64_u32 v[7:8], null, s30, v9, v[5:6]
	s_mul_i32 s13, s30, s30
	v_add_co_u32 v5, vcc_lo, s20, v11
	v_add_co_ci_u32_e32 v6, vcc_lo, s21, v12, vcc_lo
	s_mul_i32 s1, s13, s5
	s_delay_alu instid0(VALU_DEP_3) | instskip(SKIP_1) | instid1(VALU_DEP_4)
	v_add3_u32 v8, v13, v8, v10
	s_mul_hi_u32 s20, s13, s4
	v_add_co_u32 v7, vcc_lo, s18, v7
	s_add_i32 s1, s20, s1
	s_mul_i32 s20, s9, s4
	v_cmp_gt_i64_e64 s44, s[34:35], 0
	v_add_nc_u32_e32 v25, 0x1000, v24
	v_cmp_neq_f32_e64 s42, s12, 0
	v_lshl_add_u32 v27, v21, 7, 0x1000
	v_add_co_ci_u32_e32 v8, vcc_lo, s19, v8, vcc_lo
	s_mov_b32 s15, s29
	s_add_i32 s29, s1, s20
	s_mul_i32 s28, s13, s4
	s_mov_b64 s[10:11], 0
	s_and_b32 s41, s36, s0
	s_lshl_b64 s[6:7], s[30:31], 2
	s_lshl_b64 s[20:21], s[30:31], 7
	;; [unrolled: 1-line block ×3, first 2 shown]
	s_branch .LBB3_12
.LBB3_11:                               ;   in Loop: Header=BB3_12 Depth=1
	s_or_b32 exec_lo, exec_lo, s1
	s_add_u32 s10, s10, 32
	s_addc_u32 s11, s11, 0
	v_add_co_u32 v7, vcc_lo, v7, s20
	v_cmp_lt_i64_e64 s1, s[10:11], s[30:31]
	v_add_co_ci_u32_e32 v8, vcc_lo, s21, v8, vcc_lo
	s_delay_alu instid0(VALU_DEP_2)
	s_and_b32 vcc_lo, exec_lo, s1
	s_cbranch_vccz .LBB3_45
.LBB3_12:                               ; =>This Loop Header: Depth=1
                                        ;     Child Loop BB3_15 Depth 2
                                        ;       Child Loop BB3_17 Depth 3
	v_add_co_u32 v9, s1, s10, v0
	s_delay_alu instid0(VALU_DEP_1) | instskip(SKIP_1) | instid1(VALU_DEP_1)
	v_add_co_ci_u32_e64 v10, null, s11, 0, s1
	s_and_not1_b32 vcc_lo, exec_lo, s44
	v_cmp_gt_i64_e64 s1, s[30:31], v[9:10]
	s_cbranch_vccnz .LBB3_35
; %bb.13:                               ;   in Loop: Header=BB3_12 Depth=1
	v_lshlrev_b64 v[11:12], 2, v[9:10]
	v_mov_b32_e32 v28, 0
	s_mov_b64 s[36:37], 0
	s_delay_alu instid0(VALU_DEP_2) | instskip(NEXT) | instid1(VALU_DEP_3)
	v_add_co_u32 v29, vcc_lo, s18, v11
	v_add_co_ci_u32_e32 v30, vcc_lo, s19, v12, vcc_lo
	v_dual_mov_b32 v12, v8 :: v_dual_mov_b32 v11, v7
	s_branch .LBB3_15
.LBB3_14:                               ;   in Loop: Header=BB3_15 Depth=2
	v_add_co_u32 v11, vcc_lo, v11, s28
	s_add_u32 s36, s36, 1
	v_add_co_ci_u32_e32 v12, vcc_lo, s29, v12, vcc_lo
	s_addc_u32 s37, s37, 0
	s_delay_alu instid0(SALU_CYCLE_1)
	s_cmp_eq_u64 s[36:37], s[34:35]
	s_cbranch_scc1 .LBB3_36
.LBB3_15:                               ;   Parent Loop BB3_12 Depth=1
                                        ; =>  This Loop Header: Depth=2
                                        ;       Child Loop BB3_17 Depth 3
	s_mul_i32 s38, s36, s5
	s_mul_hi_u32 s39, s36, s4
	s_mul_i32 s45, s36, s4
	s_add_i32 s38, s39, s38
	s_mul_i32 s39, s37, s4
	v_dual_mov_b32 v16, v12 :: v_dual_mov_b32 v15, v11
	s_add_i32 s39, s38, s39
	s_add_u32 s38, s45, s14
	s_addc_u32 s39, s39, 0
	s_mul_hi_u32 s45, s13, s38
	s_mul_i32 s46, s13, s39
	s_mul_i32 s48, s9, s38
	s_add_i32 s45, s45, s46
	s_lshl_b64 s[46:47], s[38:39], 3
	s_add_i32 s39, s45, s48
	s_add_u32 s46, s16, s46
	s_addc_u32 s47, s17, s47
	s_mul_i32 s38, s13, s38
	s_load_b64 s[46:47], s[46:47], 0x0
	s_waitcnt lgkmcnt(0)
	s_sub_u32 s48, s46, s15
	s_subb_u32 s49, s47, 0
	v_mad_u64_u32 v[13:14], null, s6, s48, v[5:6]
	s_lshl_b64 s[38:39], s[38:39], 2
	s_mul_i32 s50, s7, s48
	v_add_co_u32 v31, vcc_lo, v29, s38
	s_mul_i32 s38, s6, s49
	s_mul_i32 s46, s48, s31
	s_mul_hi_u32 s47, s48, s30
	v_cmp_gt_i64_e64 s45, s[48:49], -1
	v_add_co_ci_u32_e32 v32, vcc_lo, s39, v30, vcc_lo
	v_add3_u32 v14, s38, s50, v14
	s_mul_i32 s51, s49, s30
	s_add_i32 s39, s47, s46
	s_mul_i32 s47, s48, s30
	s_add_i32 s46, s39, s51
	s_mov_b64 s[38:39], 0
	s_branch .LBB3_17
.LBB3_16:                               ;   in Loop: Header=BB3_17 Depth=3
	s_add_u32 s38, s38, 32
	s_addc_u32 s39, s39, 0
	v_add_co_u32 v13, vcc_lo, 0x80, v13
	v_cmp_ge_i64_e64 s48, s[38:39], s[30:31]
	v_add_co_ci_u32_e32 v14, vcc_lo, 0, v14, vcc_lo
	v_add_co_u32 v15, vcc_lo, 0x80, v15
	v_add_co_ci_u32_e32 v16, vcc_lo, 0, v16, vcc_lo
	s_delay_alu instid0(VALU_DEP_4)
	s_and_b32 vcc_lo, exec_lo, s48
	s_barrier
	buffer_gl0_inv
	s_cbranch_vccnz .LBB3_14
.LBB3_17:                               ;   Parent Loop BB3_12 Depth=1
                                        ;     Parent Loop BB3_15 Depth=2
                                        ; =>    This Inner Loop Header: Depth=3
	v_add_co_u32 v19, s48, s38, v0
	s_delay_alu instid0(VALU_DEP_1) | instskip(NEXT) | instid1(VALU_DEP_1)
	v_add_co_ci_u32_e64 v20, null, s39, 0, s48
	v_cmp_gt_i64_e32 vcc_lo, s[30:31], v[19:20]
	s_and_b32 s48, s0, vcc_lo
	s_and_b32 vcc_lo, exec_lo, s43
	s_and_b32 s50, s48, s45
	s_cbranch_vccz .LBB3_21
; %bb.18:                               ;   in Loop: Header=BB3_17 Depth=3
	s_mov_b32 s49, 0
	s_mov_b32 s48, 0
                                        ; implicit-def: $vgpr17_vgpr18
	s_and_saveexec_b32 s51, s50
	s_delay_alu instid0(SALU_CYCLE_1)
	s_xor_b32 s51, exec_lo, s51
; %bb.19:                               ;   in Loop: Header=BB3_17 Depth=3
	v_add_co_u32 v19, vcc_lo, v19, s47
	v_add_co_ci_u32_e32 v17, vcc_lo, s46, v20, vcc_lo
	s_mov_b32 s48, exec_lo
	s_delay_alu instid0(VALU_DEP_2) | instskip(NEXT) | instid1(VALU_DEP_2)
	v_mul_lo_u32 v33, v19, s23
	v_mul_lo_u32 v20, v17, s22
	v_mad_u64_u32 v[17:18], null, v19, s22, 0
	s_delay_alu instid0(VALU_DEP_1) | instskip(NEXT) | instid1(VALU_DEP_1)
	v_add3_u32 v18, v18, v33, v20
	v_lshlrev_b64 v[17:18], 2, v[17:18]
	s_delay_alu instid0(VALU_DEP_1) | instskip(NEXT) | instid1(VALU_DEP_2)
	v_add_co_u32 v17, vcc_lo, v22, v17
	v_add_co_ci_u32_e32 v18, vcc_lo, v23, v18, vcc_lo
; %bb.20:                               ;   in Loop: Header=BB3_17 Depth=3
	s_or_b32 exec_lo, exec_lo, s51
	s_delay_alu instid0(SALU_CYCLE_1)
	s_and_b32 vcc_lo, exec_lo, s49
	s_cbranch_vccnz .LBB3_22
	s_branch .LBB3_23
.LBB3_21:                               ;   in Loop: Header=BB3_17 Depth=3
	s_mov_b32 s49, -1
	s_mov_b32 s48, 0
                                        ; implicit-def: $vgpr17_vgpr18
	s_cbranch_execz .LBB3_23
.LBB3_22:                               ;   in Loop: Header=BB3_17 Depth=3
	v_dual_mov_b32 v18, v14 :: v_dual_mov_b32 v17, v13
	s_and_not1_b32 s48, s48, exec_lo
	s_and_b32 s50, s50, exec_lo
	s_mov_b32 s49, 0
	s_or_b32 s48, s48, s50
.LBB3_23:                               ;   in Loop: Header=BB3_17 Depth=3
	v_mov_b32_e32 v33, s49
	s_and_saveexec_b32 s49, s48
	s_cbranch_execz .LBB3_25
; %bb.24:                               ;   in Loop: Header=BB3_17 Depth=3
	global_load_b32 v33, v[17:18], off
.LBB3_25:                               ;   in Loop: Header=BB3_17 Depth=3
	s_or_b32 exec_lo, exec_lo, s49
	v_add_co_u32 v19, s48, s38, v21
	s_delay_alu instid0(VALU_DEP_1)
	v_add_co_ci_u32_e64 v20, null, s39, 0, s48
	s_waitcnt vmcnt(0)
	ds_store_b32 v25, v33
	v_cmp_gt_i64_e32 vcc_lo, s[30:31], v[19:20]
	s_and_b32 s48, s1, vcc_lo
	s_and_b32 vcc_lo, exec_lo, s33
	s_and_b32 s50, s48, s45
	s_cbranch_vccz .LBB3_34
; %bb.26:                               ;   in Loop: Header=BB3_17 Depth=3
	s_mov_b32 s49, 0
	s_mov_b32 s48, 0
                                        ; implicit-def: $vgpr17_vgpr18
	s_and_saveexec_b32 s51, s50
	s_delay_alu instid0(SALU_CYCLE_1)
	s_xor_b32 s51, exec_lo, s51
; %bb.27:                               ;   in Loop: Header=BB3_17 Depth=3
	v_mul_lo_u32 v20, v20, s30
	v_mul_lo_u32 v33, v19, s31
	v_mad_u64_u32 v[17:18], null, v19, s30, 0
	s_mov_b32 s48, exec_lo
	s_delay_alu instid0(VALU_DEP_1) | instskip(NEXT) | instid1(VALU_DEP_1)
	v_add3_u32 v18, v18, v33, v20
	v_lshlrev_b64 v[17:18], 2, v[17:18]
	s_delay_alu instid0(VALU_DEP_1) | instskip(NEXT) | instid1(VALU_DEP_2)
	v_add_co_u32 v17, vcc_lo, v31, v17
	v_add_co_ci_u32_e32 v18, vcc_lo, v32, v18, vcc_lo
; %bb.28:                               ;   in Loop: Header=BB3_17 Depth=3
	s_or_b32 exec_lo, exec_lo, s51
	s_delay_alu instid0(SALU_CYCLE_1)
	s_and_b32 vcc_lo, exec_lo, s49
	s_cbranch_vccz .LBB3_30
.LBB3_29:                               ;   in Loop: Header=BB3_17 Depth=3
	v_dual_mov_b32 v18, v16 :: v_dual_mov_b32 v17, v15
	s_and_not1_b32 s48, s48, exec_lo
	s_and_b32 s50, s50, exec_lo
	s_mov_b32 s49, 0
	s_or_b32 s48, s48, s50
.LBB3_30:                               ;   in Loop: Header=BB3_17 Depth=3
	v_mov_b32_e32 v19, s49
	s_and_saveexec_b32 s49, s48
	s_cbranch_execz .LBB3_32
; %bb.31:                               ;   in Loop: Header=BB3_17 Depth=3
	global_load_b32 v19, v[17:18], off
.LBB3_32:                               ;   in Loop: Header=BB3_17 Depth=3
	s_or_b32 exec_lo, exec_lo, s49
	s_delay_alu instid0(SALU_CYCLE_1)
	s_and_not1_b32 vcc_lo, exec_lo, s45
	s_waitcnt vmcnt(0)
	ds_store_b32 v24, v19
	s_waitcnt lgkmcnt(0)
	s_waitcnt_vscnt null, 0x0
	s_barrier
	buffer_gl0_inv
	s_cbranch_vccnz .LBB3_16
; %bb.33:                               ;   in Loop: Header=BB3_17 Depth=3
	ds_load_2addr_b32 v[37:38], v26 offset1:32
	ds_load_b128 v[17:20], v27
	ds_load_2addr_b32 v[39:40], v26 offset0:64 offset1:96
	ds_load_b128 v[33:36], v27 offset:16
	ds_load_2addr_b32 v[41:42], v26 offset0:128 offset1:160
	s_waitcnt lgkmcnt(3)
	v_dual_fmac_f32 v28, v37, v17 :: v_dual_add_nc_u32 v43, 0x400, v26
	s_delay_alu instid0(VALU_DEP_1) | instskip(SKIP_3) | instid1(VALU_DEP_1)
	v_fmac_f32_e32 v28, v38, v18
	ds_load_2addr_b32 v[37:38], v26 offset0:192 offset1:224
	s_waitcnt lgkmcnt(3)
	v_fmac_f32_e32 v28, v39, v19
	v_fmac_f32_e32 v28, v40, v20
	ds_load_2addr_b32 v[39:40], v43 offset1:32
	ds_load_b128 v[17:20], v27 offset:32
	s_waitcnt lgkmcnt(3)
	v_fmac_f32_e32 v28, v41, v33
	s_delay_alu instid0(VALU_DEP_1) | instskip(SKIP_3) | instid1(VALU_DEP_1)
	v_fmac_f32_e32 v28, v42, v34
	ds_load_2addr_b32 v[41:42], v43 offset0:64 offset1:96
	s_waitcnt lgkmcnt(3)
	v_fmac_f32_e32 v28, v37, v35
	v_fmac_f32_e32 v28, v38, v36
	ds_load_b128 v[33:36], v27 offset:48
	ds_load_2addr_b32 v[37:38], v43 offset0:128 offset1:160
	s_waitcnt lgkmcnt(3)
	v_fmac_f32_e32 v28, v39, v17
	s_delay_alu instid0(VALU_DEP_1) | instskip(SKIP_3) | instid1(VALU_DEP_1)
	v_fmac_f32_e32 v28, v40, v18
	ds_load_2addr_b32 v[39:40], v43 offset0:192 offset1:224
	s_waitcnt lgkmcnt(3)
	v_dual_fmac_f32 v28, v41, v19 :: v_dual_add_nc_u32 v43, 0x800, v26
	v_fmac_f32_e32 v28, v42, v20
	ds_load_2addr_b32 v[41:42], v43 offset1:32
	ds_load_b128 v[17:20], v27 offset:64
	s_waitcnt lgkmcnt(3)
	v_fmac_f32_e32 v28, v37, v33
	s_delay_alu instid0(VALU_DEP_1) | instskip(SKIP_3) | instid1(VALU_DEP_1)
	v_fmac_f32_e32 v28, v38, v34
	ds_load_2addr_b32 v[37:38], v43 offset0:64 offset1:96
	s_waitcnt lgkmcnt(3)
	v_fmac_f32_e32 v28, v39, v35
	v_fmac_f32_e32 v28, v40, v36
	ds_load_b128 v[33:36], v27 offset:80
	ds_load_2addr_b32 v[39:40], v43 offset0:128 offset1:160
	s_waitcnt lgkmcnt(3)
	v_fmac_f32_e32 v28, v41, v17
	s_delay_alu instid0(VALU_DEP_1) | instskip(SKIP_3) | instid1(VALU_DEP_1)
	v_fmac_f32_e32 v28, v42, v18
	ds_load_2addr_b32 v[41:42], v43 offset0:192 offset1:224
	s_waitcnt lgkmcnt(3)
	v_dual_fmac_f32 v28, v37, v19 :: v_dual_add_nc_u32 v43, 0xc00, v26
	v_fmac_f32_e32 v28, v38, v20
	ds_load_2addr_b32 v[37:38], v43 offset1:32
	ds_load_b128 v[17:20], v27 offset:96
	s_waitcnt lgkmcnt(3)
	v_fmac_f32_e32 v28, v39, v33
	s_delay_alu instid0(VALU_DEP_1) | instskip(SKIP_3) | instid1(VALU_DEP_1)
	v_fmac_f32_e32 v28, v40, v34
	ds_load_2addr_b32 v[39:40], v43 offset0:64 offset1:96
	s_waitcnt lgkmcnt(3)
	v_fmac_f32_e32 v28, v41, v35
	v_fmac_f32_e32 v28, v42, v36
	ds_load_b128 v[33:36], v27 offset:112
	ds_load_2addr_b32 v[41:42], v43 offset0:128 offset1:160
	s_waitcnt lgkmcnt(3)
	v_fmac_f32_e32 v28, v37, v17
	s_delay_alu instid0(VALU_DEP_1) | instskip(SKIP_3) | instid1(VALU_DEP_1)
	v_fmac_f32_e32 v28, v38, v18
	ds_load_2addr_b32 v[17:18], v43 offset0:192 offset1:224
	s_waitcnt lgkmcnt(3)
	v_fmac_f32_e32 v28, v39, v19
	v_fmac_f32_e32 v28, v40, v20
	s_waitcnt lgkmcnt(1)
	s_delay_alu instid0(VALU_DEP_1) | instskip(NEXT) | instid1(VALU_DEP_1)
	v_fmac_f32_e32 v28, v41, v33
	v_fmac_f32_e32 v28, v42, v34
	s_waitcnt lgkmcnt(0)
	s_delay_alu instid0(VALU_DEP_1) | instskip(NEXT) | instid1(VALU_DEP_1)
	v_fmac_f32_e32 v28, v17, v35
	v_fmac_f32_e32 v28, v18, v36
	s_branch .LBB3_16
.LBB3_34:                               ;   in Loop: Header=BB3_17 Depth=3
	s_mov_b32 s49, -1
	s_mov_b32 s48, 0
                                        ; implicit-def: $vgpr17_vgpr18
	s_cbranch_execnz .LBB3_29
	s_branch .LBB3_30
.LBB3_35:                               ;   in Loop: Header=BB3_12 Depth=1
	v_mov_b32_e32 v28, 0
.LBB3_36:                               ;   in Loop: Header=BB3_12 Depth=1
	v_add_co_u32 v13, vcc_lo, v9, s2
	v_add_co_ci_u32_e32 v14, vcc_lo, s3, v10, vcc_lo
	s_and_b32 vcc_lo, exec_lo, s40
	s_cbranch_vccz .LBB3_38
; %bb.37:                               ;   in Loop: Header=BB3_12 Depth=1
	s_delay_alu instid0(VALU_DEP_2) | instskip(SKIP_2) | instid1(VALU_DEP_1)
	v_mad_u64_u32 v[11:12], null, v13, s26, v[1:2]
	v_mul_lo_u32 v15, v13, s27
	v_mul_lo_u32 v16, v14, s26
	v_add3_u32 v12, v16, v12, v15
	s_cbranch_execz .LBB3_39
	s_branch .LBB3_40
.LBB3_38:                               ;   in Loop: Header=BB3_12 Depth=1
                                        ; implicit-def: $vgpr11_vgpr12
.LBB3_39:                               ;   in Loop: Header=BB3_12 Depth=1
	s_delay_alu instid0(VALU_DEP_2) | instskip(NEXT) | instid1(VALU_DEP_2)
	v_add_co_u32 v11, vcc_lo, v13, v3
	v_add_co_ci_u32_e32 v12, vcc_lo, v14, v4, vcc_lo
.LBB3_40:                               ;   in Loop: Header=BB3_12 Depth=1
	v_cmp_gt_i64_e32 vcc_lo, s[30:31], v[9:10]
	s_and_b32 s36, s41, vcc_lo
	s_delay_alu instid0(SALU_CYCLE_1)
	s_and_saveexec_b32 s1, s36
	s_cbranch_execz .LBB3_11
; %bb.41:                               ;   in Loop: Header=BB3_12 Depth=1
	v_lshlrev_b64 v[9:10], 2, v[11:12]
	v_mul_f32_e32 v11, s8, v28
	s_and_b32 vcc_lo, exec_lo, s42
	s_cbranch_vccz .LBB3_43
; %bb.42:                               ;   in Loop: Header=BB3_12 Depth=1
	s_delay_alu instid0(VALU_DEP_2) | instskip(NEXT) | instid1(VALU_DEP_3)
	v_add_co_u32 v12, vcc_lo, s24, v9
	v_add_co_ci_u32_e32 v13, vcc_lo, s25, v10, vcc_lo
	global_load_b32 v14, v[12:13], off
	s_waitcnt vmcnt(0)
	v_fma_f32 v14, s12, v14, v11
	global_store_b32 v[12:13], v14, off
	s_cbranch_execnz .LBB3_11
	s_branch .LBB3_44
.LBB3_43:                               ;   in Loop: Header=BB3_12 Depth=1
.LBB3_44:                               ;   in Loop: Header=BB3_12 Depth=1
	s_delay_alu instid0(VALU_DEP_2) | instskip(NEXT) | instid1(VALU_DEP_3)
	v_add_co_u32 v9, vcc_lo, s24, v9
	v_add_co_ci_u32_e32 v10, vcc_lo, s25, v10, vcc_lo
	global_store_b32 v[9:10], v11, off
	s_branch .LBB3_11
.LBB3_45:
	s_nop 0
	s_sendmsg sendmsg(MSG_DEALLOC_VGPRS)
	s_endpgm
.LBB3_46:
                                        ; implicit-def: $sgpr34_sgpr35
	s_branch .LBB3_8
	.section	.rodata,"a",@progbits
	.p2align	6, 0x0
	.amdhsa_kernel _ZN9rocsparseL30bellmm_general_blockdim_kernelILi32ELi32EflfffEEv20rocsparse_operation_S1_20rocsparse_direction_T2_S3_NS_24const_host_device_scalarIT1_EES3_S3_PKS3_PKT3_PKT4_l16rocsparse_order_S6_PT5_lSF_21rocsparse_index_base_b
		.amdhsa_group_segment_fixed_size 8192
		.amdhsa_private_segment_fixed_size 0
		.amdhsa_kernarg_size 132
		.amdhsa_user_sgpr_count 14
		.amdhsa_user_sgpr_dispatch_ptr 0
		.amdhsa_user_sgpr_queue_ptr 0
		.amdhsa_user_sgpr_kernarg_segment_ptr 1
		.amdhsa_user_sgpr_dispatch_id 0
		.amdhsa_user_sgpr_private_segment_size 0
		.amdhsa_wavefront_size32 1
		.amdhsa_uses_dynamic_stack 0
		.amdhsa_enable_private_segment 0
		.amdhsa_system_sgpr_workgroup_id_x 1
		.amdhsa_system_sgpr_workgroup_id_y 1
		.amdhsa_system_sgpr_workgroup_id_z 0
		.amdhsa_system_sgpr_workgroup_info 0
		.amdhsa_system_vgpr_workitem_id 1
		.amdhsa_next_free_vgpr 44
		.amdhsa_next_free_sgpr 52
		.amdhsa_reserve_vcc 1
		.amdhsa_float_round_mode_32 0
		.amdhsa_float_round_mode_16_64 0
		.amdhsa_float_denorm_mode_32 3
		.amdhsa_float_denorm_mode_16_64 3
		.amdhsa_dx10_clamp 1
		.amdhsa_ieee_mode 1
		.amdhsa_fp16_overflow 0
		.amdhsa_workgroup_processor_mode 1
		.amdhsa_memory_ordered 1
		.amdhsa_forward_progress 0
		.amdhsa_shared_vgpr_count 0
		.amdhsa_exception_fp_ieee_invalid_op 0
		.amdhsa_exception_fp_denorm_src 0
		.amdhsa_exception_fp_ieee_div_zero 0
		.amdhsa_exception_fp_ieee_overflow 0
		.amdhsa_exception_fp_ieee_underflow 0
		.amdhsa_exception_fp_ieee_inexact 0
		.amdhsa_exception_int_div_zero 0
	.end_amdhsa_kernel
	.section	.text._ZN9rocsparseL30bellmm_general_blockdim_kernelILi32ELi32EflfffEEv20rocsparse_operation_S1_20rocsparse_direction_T2_S3_NS_24const_host_device_scalarIT1_EES3_S3_PKS3_PKT3_PKT4_l16rocsparse_order_S6_PT5_lSF_21rocsparse_index_base_b,"axG",@progbits,_ZN9rocsparseL30bellmm_general_blockdim_kernelILi32ELi32EflfffEEv20rocsparse_operation_S1_20rocsparse_direction_T2_S3_NS_24const_host_device_scalarIT1_EES3_S3_PKS3_PKT3_PKT4_l16rocsparse_order_S6_PT5_lSF_21rocsparse_index_base_b,comdat
.Lfunc_end3:
	.size	_ZN9rocsparseL30bellmm_general_blockdim_kernelILi32ELi32EflfffEEv20rocsparse_operation_S1_20rocsparse_direction_T2_S3_NS_24const_host_device_scalarIT1_EES3_S3_PKS3_PKT3_PKT4_l16rocsparse_order_S6_PT5_lSF_21rocsparse_index_base_b, .Lfunc_end3-_ZN9rocsparseL30bellmm_general_blockdim_kernelILi32ELi32EflfffEEv20rocsparse_operation_S1_20rocsparse_direction_T2_S3_NS_24const_host_device_scalarIT1_EES3_S3_PKS3_PKT3_PKT4_l16rocsparse_order_S6_PT5_lSF_21rocsparse_index_base_b
                                        ; -- End function
	.section	.AMDGPU.csdata,"",@progbits
; Kernel info:
; codeLenInByte = 2972
; NumSgprs: 54
; NumVgprs: 44
; ScratchSize: 0
; MemoryBound: 0
; FloatMode: 240
; IeeeMode: 1
; LDSByteSize: 8192 bytes/workgroup (compile time only)
; SGPRBlocks: 6
; VGPRBlocks: 5
; NumSGPRsForWavesPerEU: 54
; NumVGPRsForWavesPerEU: 44
; Occupancy: 16
; WaveLimiterHint : 1
; COMPUTE_PGM_RSRC2:SCRATCH_EN: 0
; COMPUTE_PGM_RSRC2:USER_SGPR: 14
; COMPUTE_PGM_RSRC2:TRAP_HANDLER: 0
; COMPUTE_PGM_RSRC2:TGID_X_EN: 1
; COMPUTE_PGM_RSRC2:TGID_Y_EN: 1
; COMPUTE_PGM_RSRC2:TGID_Z_EN: 0
; COMPUTE_PGM_RSRC2:TIDIG_COMP_CNT: 1
	.section	.text._ZN9rocsparseL30bellmm_general_blockdim_kernelILi32ELi32EdidddEEv20rocsparse_operation_S1_20rocsparse_direction_T2_S3_NS_24const_host_device_scalarIT1_EES3_S3_PKS3_PKT3_PKT4_l16rocsparse_order_S6_PT5_lSF_21rocsparse_index_base_b,"axG",@progbits,_ZN9rocsparseL30bellmm_general_blockdim_kernelILi32ELi32EdidddEEv20rocsparse_operation_S1_20rocsparse_direction_T2_S3_NS_24const_host_device_scalarIT1_EES3_S3_PKS3_PKT3_PKT4_l16rocsparse_order_S6_PT5_lSF_21rocsparse_index_base_b,comdat
	.globl	_ZN9rocsparseL30bellmm_general_blockdim_kernelILi32ELi32EdidddEEv20rocsparse_operation_S1_20rocsparse_direction_T2_S3_NS_24const_host_device_scalarIT1_EES3_S3_PKS3_PKT3_PKT4_l16rocsparse_order_S6_PT5_lSF_21rocsparse_index_base_b ; -- Begin function _ZN9rocsparseL30bellmm_general_blockdim_kernelILi32ELi32EdidddEEv20rocsparse_operation_S1_20rocsparse_direction_T2_S3_NS_24const_host_device_scalarIT1_EES3_S3_PKS3_PKT3_PKT4_l16rocsparse_order_S6_PT5_lSF_21rocsparse_index_base_b
	.p2align	8
	.type	_ZN9rocsparseL30bellmm_general_blockdim_kernelILi32ELi32EdidddEEv20rocsparse_operation_S1_20rocsparse_direction_T2_S3_NS_24const_host_device_scalarIT1_EES3_S3_PKS3_PKT3_PKT4_l16rocsparse_order_S6_PT5_lSF_21rocsparse_index_base_b,@function
_ZN9rocsparseL30bellmm_general_blockdim_kernelILi32ELi32EdidddEEv20rocsparse_operation_S1_20rocsparse_direction_T2_S3_NS_24const_host_device_scalarIT1_EES3_S3_PKS3_PKT3_PKT4_l16rocsparse_order_S6_PT5_lSF_21rocsparse_index_base_b: ; @_ZN9rocsparseL30bellmm_general_blockdim_kernelILi32ELi32EdidddEEv20rocsparse_operation_S1_20rocsparse_direction_T2_S3_NS_24const_host_device_scalarIT1_EES3_S3_PKS3_PKT3_PKT4_l16rocsparse_order_S6_PT5_lSF_21rocsparse_index_base_b
; %bb.0:
	s_clause 0x2
	s_load_b128 s[16:19], s[0:1], 0x68
	s_load_b64 s[4:5], s[0:1], 0x18
	s_load_b64 s[2:3], s[0:1], 0x50
	s_waitcnt lgkmcnt(0)
	s_bitcmp1_b32 s18, 0
	v_dual_mov_b32 v1, s4 :: v_dual_mov_b32 v2, s5
	s_cselect_b32 s6, -1, 0
	s_delay_alu instid0(SALU_CYCLE_1)
	s_and_b32 vcc_lo, exec_lo, s6
	s_xor_b32 s6, s6, -1
	s_cbranch_vccnz .LBB4_2
; %bb.1:
	v_dual_mov_b32 v1, s4 :: v_dual_mov_b32 v2, s5
	flat_load_b64 v[1:2], v[1:2]
.LBB4_2:
	v_dual_mov_b32 v4, s3 :: v_dual_mov_b32 v3, s2
	s_and_not1_b32 vcc_lo, exec_lo, s6
	s_cbranch_vccnz .LBB4_4
; %bb.3:
	v_dual_mov_b32 v4, s3 :: v_dual_mov_b32 v3, s2
	flat_load_b64 v[3:4], v[3:4]
.LBB4_4:
	s_waitcnt vmcnt(0) lgkmcnt(0)
	v_cmp_neq_f64_e32 vcc_lo, 0, v[1:2]
	v_cmp_neq_f64_e64 s2, 1.0, v[3:4]
	s_delay_alu instid0(VALU_DEP_1) | instskip(NEXT) | instid1(SALU_CYCLE_1)
	s_or_b32 s2, vcc_lo, s2
	s_and_saveexec_b32 s3, s2
	s_cbranch_execz .LBB4_46
; %bb.5:
	s_clause 0x1
	s_load_b128 s[20:23], s[0:1], 0x4
	s_load_b64 s[2:3], s[0:1], 0x20
	s_mov_b32 s12, 0
	s_waitcnt lgkmcnt(0)
	s_cmp_lt_i32 s14, s22
	s_cselect_b32 s28, -1, 0
	s_cmp_ge_i32 s14, s22
	s_cbranch_scc1 .LBB4_7
; %bb.6:
	s_abs_i32 s4, s3
	s_abs_i32 s7, s2
	v_cvt_f32_u32_e32 v5, s4
	s_sub_i32 s6, 0, s4
	s_xor_b32 s2, s2, s3
	s_delay_alu instid0(SALU_CYCLE_1) | instskip(NEXT) | instid1(VALU_DEP_1)
	s_ashr_i32 s2, s2, 31
	v_rcp_iflag_f32_e32 v5, v5
	s_waitcnt_depctr 0xfff
	v_mul_f32_e32 v5, 0x4f7ffffe, v5
	s_delay_alu instid0(VALU_DEP_1) | instskip(NEXT) | instid1(VALU_DEP_1)
	v_cvt_u32_f32_e32 v5, v5
	v_readfirstlane_b32 s5, v5
	s_delay_alu instid0(VALU_DEP_1) | instskip(NEXT) | instid1(SALU_CYCLE_1)
	s_mul_i32 s6, s6, s5
	s_mul_hi_u32 s6, s5, s6
	s_delay_alu instid0(SALU_CYCLE_1) | instskip(NEXT) | instid1(SALU_CYCLE_1)
	s_add_i32 s5, s5, s6
	s_mul_hi_u32 s5, s7, s5
	s_delay_alu instid0(SALU_CYCLE_1) | instskip(NEXT) | instid1(SALU_CYCLE_1)
	s_mul_i32 s6, s5, s4
	s_sub_i32 s6, s7, s6
	s_add_i32 s7, s5, 1
	s_sub_i32 s8, s6, s4
	s_cmp_ge_u32 s6, s4
	s_cselect_b32 s5, s7, s5
	s_cselect_b32 s6, s8, s6
	s_add_i32 s7, s5, 1
	s_cmp_ge_u32 s6, s4
	s_cselect_b32 s4, s7, s5
	s_delay_alu instid0(SALU_CYCLE_1) | instskip(NEXT) | instid1(SALU_CYCLE_1)
	s_xor_b32 s4, s4, s2
	s_sub_i32 s12, s4, s2
.LBB4_7:
	s_cmp_lt_i32 s3, 1
	s_cbranch_scc1 .LBB4_46
; %bb.8:
	s_load_b256 s[4:11], s[0:1], 0x28
	v_bfe_u32 v5, v0, 10, 10
	s_clause 0x1
	s_load_b128 s[24:27], s[0:1], 0x58
	s_load_b32 s2, s[0:1], 0x48
	v_cmp_neq_f64_e64 s0, 0, v[3:4]
	v_and_b32_e32 v0, 0x3ff, v0
	s_mul_i32 s13, s14, s3
	v_lshl_add_u32 v6, s15, 5, v5
	v_lshlrev_b32_e32 v8, 5, v5
	s_cmp_gt_i32 s12, 0
	v_lshlrev_b32_e32 v28, 3, v0
	s_cselect_b32 s18, -1, 0
	v_ashrrev_i32_e32 v7, 31, v6
	v_add_lshl_u32 v22, v8, v0, 3
	s_cmpk_eq_i32 s20, 0x6f
	v_cmp_gt_i32_e64 s1, s23, v6
	s_cselect_b32 s29, -1, 0
	v_lshlrev_b64 v[12:13], 3, v[6:7]
	v_add_nc_u32_e32 v23, 0x2000, v22
	v_lshl_add_u32 v29, v5, 8, 0x2000
	v_add_nc_u32_e32 v30, 0x800, v28
	s_waitcnt lgkmcnt(0)
	v_mul_lo_u32 v8, v7, s10
	v_mul_lo_u32 v9, v6, s11
	v_mad_u64_u32 v[10:11], null, v6, s10, 0
	v_mul_lo_u32 v14, v7, s26
	v_mul_lo_u32 v15, v6, s27
	v_add_co_u32 v24, vcc_lo, s8, v12
	v_add_nc_u32_e32 v12, s13, v0
	v_add_co_ci_u32_e32 v25, vcc_lo, s9, v13, vcc_lo
	v_add3_u32 v11, v11, v9, v8
	v_mad_u64_u32 v[8:9], null, v6, s26, 0
	s_cmp_lg_u32 s2, 1
	v_add_nc_u32_e32 v31, 0x1000, v28
	s_delay_alu instid0(VALU_DEP_3)
	v_lshlrev_b64 v[10:11], 3, v[10:11]
	s_cselect_b32 s2, -1, 0
	s_cmp_lg_u32 s21, 0
	v_add_nc_u32_e32 v32, 0x1800, v28
	s_cselect_b32 s19, -1, 0
	s_cmp_lg_u32 s16, 1
	v_add_co_u32 v26, vcc_lo, s8, v10
	v_add_co_ci_u32_e32 v27, vcc_lo, s9, v11, vcc_lo
	v_mad_u64_u32 v[10:11], null, s3, v12, v[5:6]
	v_mov_b32_e32 v12, 0
	v_add3_u32 v9, v9, v15, v14
	s_cselect_b32 s16, -1, 0
	s_and_b32 s20, s28, s1
	s_xor_b32 s2, s29, s2
	s_mul_i32 s28, s3, s3
	s_mov_b32 s15, 0
	s_xor_b32 s21, s2, -1
	s_lshl_b32 s23, s3, 5
	s_mul_i32 s28, s28, s22
	s_branch .LBB4_10
.LBB4_9:                                ;   in Loop: Header=BB4_10 Depth=1
	s_or_b32 exec_lo, exec_lo, s2
	v_add_nc_u32_e32 v10, s23, v10
	s_add_i32 s15, s15, 32
	s_delay_alu instid0(SALU_CYCLE_1)
	s_cmp_lt_i32 s15, s3
	s_cbranch_scc0 .LBB4_46
.LBB4_10:                               ; =>This Loop Header: Depth=1
                                        ;     Child Loop BB4_13 Depth 2
                                        ;       Child Loop BB4_15 Depth 3
	v_dual_mov_b32 v16, 0 :: v_dual_add_nc_u32 v13, s15, v0
	v_mov_b32_e32 v17, 0
	s_and_not1_b32 vcc_lo, exec_lo, s18
	s_delay_alu instid0(VALU_DEP_2)
	v_cmp_gt_i32_e64 s2, s3, v13
	s_cbranch_vccnz .LBB4_37
; %bb.11:                               ;   in Loop: Header=BB4_10 Depth=1
	v_mov_b32_e32 v33, v10
	s_mov_b32 s29, 0
	s_branch .LBB4_13
.LBB4_12:                               ;   in Loop: Header=BB4_13 Depth=2
	v_add_nc_u32_e32 v33, s28, v33
	s_add_i32 s29, s29, 1
	s_delay_alu instid0(SALU_CYCLE_1)
	s_cmp_eq_u32 s29, s12
	s_cbranch_scc1 .LBB4_37
.LBB4_13:                               ;   Parent Loop BB4_10 Depth=1
                                        ; =>  This Loop Header: Depth=2
                                        ;       Child Loop BB4_15 Depth 3
	s_mul_i32 s8, s29, s22
	s_mov_b32 s33, 0
	s_add_i32 s8, s8, s14
	s_delay_alu instid0(SALU_CYCLE_1) | instskip(NEXT) | instid1(SALU_CYCLE_1)
	s_ashr_i32 s9, s8, 31
	s_lshl_b64 s[30:31], s[8:9], 2
	s_delay_alu instid0(SALU_CYCLE_1)
	s_add_u32 s30, s4, s30
	s_addc_u32 s31, s5, s31
	s_load_b32 s9, s[30:31], 0x0
	s_mul_i32 s31, s8, s3
	s_waitcnt lgkmcnt(0)
	s_sub_i32 s9, s9, s17
	s_delay_alu instid0(SALU_CYCLE_1)
	v_mad_u64_u32 v[14:15], null, s9, s3, v[0:1]
	s_cmp_gt_i32 s9, -1
	s_cselect_b32 s30, -1, 0
	s_branch .LBB4_15
.LBB4_14:                               ;   in Loop: Header=BB4_15 Depth=3
	s_add_i32 s33, s33, 32
	s_delay_alu instid0(SALU_CYCLE_1)
	s_cmp_ge_i32 s33, s3
	s_barrier
	buffer_gl0_inv
	s_cbranch_scc1 .LBB4_12
.LBB4_15:                               ;   Parent Loop BB4_10 Depth=1
                                        ;     Parent Loop BB4_13 Depth=2
                                        ; =>    This Inner Loop Header: Depth=3
	v_add_nc_u32_e32 v11, s33, v0
	s_delay_alu instid0(VALU_DEP_1)
	v_cmp_gt_i32_e32 vcc_lo, s3, v11
	s_and_b32 s8, s1, vcc_lo
	s_and_b32 vcc_lo, exec_lo, s21
	s_and_b32 s35, s8, s30
	s_cbranch_vccz .LBB4_19
; %bb.16:                               ;   in Loop: Header=BB4_15 Depth=3
	s_mov_b32 s36, 0
	s_mov_b32 s34, 0
                                        ; implicit-def: $vgpr18_vgpr19
	s_and_saveexec_b32 s8, s35
	s_delay_alu instid0(SALU_CYCLE_1)
	s_xor_b32 s8, exec_lo, s8
; %bb.17:                               ;   in Loop: Header=BB4_15 Depth=3
	v_add_nc_u32_e32 v15, s33, v14
	s_mov_b32 s34, exec_lo
	s_delay_alu instid0(VALU_DEP_1) | instskip(NEXT) | instid1(VALU_DEP_1)
	v_mad_u64_u32 v[18:19], null, v15, s10, 0
	v_mov_b32_e32 v11, v19
	s_delay_alu instid0(VALU_DEP_1) | instskip(NEXT) | instid1(VALU_DEP_1)
	v_mad_u64_u32 v[19:20], null, v15, s11, v[11:12]
	v_lshlrev_b64 v[18:19], 3, v[18:19]
	s_delay_alu instid0(VALU_DEP_1) | instskip(NEXT) | instid1(VALU_DEP_2)
	v_add_co_u32 v18, vcc_lo, v24, v18
	v_add_co_ci_u32_e32 v19, vcc_lo, v25, v19, vcc_lo
; %bb.18:                               ;   in Loop: Header=BB4_15 Depth=3
	s_or_b32 exec_lo, exec_lo, s8
	s_mov_b64 s[8:9], 0
	s_and_b32 vcc_lo, exec_lo, s36
	s_cbranch_vccnz .LBB4_20
	s_branch .LBB4_23
.LBB4_19:                               ;   in Loop: Header=BB4_15 Depth=3
	s_mov_b32 s34, 0
                                        ; implicit-def: $vgpr18_vgpr19
                                        ; implicit-def: $sgpr8_sgpr9
	s_cbranch_execz .LBB4_23
.LBB4_20:                               ;   in Loop: Header=BB4_15 Depth=3
                                        ; implicit-def: $vgpr18_vgpr19
	s_and_saveexec_b32 s8, s35
; %bb.21:                               ;   in Loop: Header=BB4_15 Depth=3
	v_add_nc_u32_e32 v11, s33, v14
	s_or_b32 s34, s34, exec_lo
	s_delay_alu instid0(VALU_DEP_1) | instskip(NEXT) | instid1(VALU_DEP_1)
	v_lshlrev_b64 v[18:19], 3, v[11:12]
	v_add_co_u32 v18, vcc_lo, v26, v18
	s_delay_alu instid0(VALU_DEP_2)
	v_add_co_ci_u32_e32 v19, vcc_lo, v27, v19, vcc_lo
; %bb.22:                               ;   in Loop: Header=BB4_15 Depth=3
	s_or_b32 exec_lo, exec_lo, s8
	s_mov_b64 s[8:9], 0
.LBB4_23:                               ;   in Loop: Header=BB4_15 Depth=3
	s_delay_alu instid0(SALU_CYCLE_1)
	v_dual_mov_b32 v21, s9 :: v_dual_mov_b32 v20, s8
	s_and_saveexec_b32 s8, s34
	s_cbranch_execz .LBB4_25
; %bb.24:                               ;   in Loop: Header=BB4_15 Depth=3
	global_load_b64 v[20:21], v[18:19], off
.LBB4_25:                               ;   in Loop: Header=BB4_15 Depth=3
	s_or_b32 exec_lo, exec_lo, s8
	v_add_nc_u32_e32 v11, s33, v5
	s_waitcnt vmcnt(0)
	ds_store_b64 v23, v[20:21]
	v_cmp_gt_i32_e32 vcc_lo, s3, v11
	s_and_b32 s8, s2, vcc_lo
	s_and_b32 vcc_lo, exec_lo, s19
	s_and_b32 s35, s8, s30
	s_cbranch_vccz .LBB4_33
; %bb.26:                               ;   in Loop: Header=BB4_15 Depth=3
	s_mov_b32 s36, 0
	s_mov_b32 s34, 0
                                        ; implicit-def: $vgpr18
	s_and_saveexec_b32 s8, s35
	s_delay_alu instid0(SALU_CYCLE_1)
	s_xor_b32 s8, exec_lo, s8
; %bb.27:                               ;   in Loop: Header=BB4_15 Depth=3
	v_add_nc_u32_e32 v11, s31, v11
	s_mov_b32 s34, exec_lo
	s_delay_alu instid0(VALU_DEP_1)
	v_mad_u64_u32 v[18:19], null, v11, s3, v[13:14]
; %bb.28:                               ;   in Loop: Header=BB4_15 Depth=3
	s_or_b32 exec_lo, exec_lo, s8
	s_mov_b64 s[8:9], 0
	s_and_b32 vcc_lo, exec_lo, s36
	s_cbranch_vccnz .LBB4_34
.LBB4_29:                               ;   in Loop: Header=BB4_15 Depth=3
	v_dual_mov_b32 v20, s9 :: v_dual_mov_b32 v19, s8
	s_and_saveexec_b32 s8, s34
	s_cbranch_execz .LBB4_31
.LBB4_30:                               ;   in Loop: Header=BB4_15 Depth=3
	v_ashrrev_i32_e32 v19, 31, v18
	s_delay_alu instid0(VALU_DEP_1) | instskip(NEXT) | instid1(VALU_DEP_1)
	v_lshlrev_b64 v[18:19], 3, v[18:19]
	v_add_co_u32 v18, vcc_lo, s6, v18
	s_delay_alu instid0(VALU_DEP_2)
	v_add_co_ci_u32_e32 v19, vcc_lo, s7, v19, vcc_lo
	global_load_b64 v[19:20], v[18:19], off
.LBB4_31:                               ;   in Loop: Header=BB4_15 Depth=3
	s_or_b32 exec_lo, exec_lo, s8
	s_delay_alu instid0(SALU_CYCLE_1)
	s_and_not1_b32 vcc_lo, exec_lo, s30
	s_waitcnt vmcnt(0)
	ds_store_b64 v22, v[19:20]
	s_waitcnt lgkmcnt(0)
	s_waitcnt_vscnt null, 0x0
	s_barrier
	buffer_gl0_inv
	s_cbranch_vccnz .LBB4_14
; %bb.32:                               ;   in Loop: Header=BB4_15 Depth=3
	ds_load_2addr_b64 v[18:21], v28 offset1:32
	ds_load_b128 v[34:37], v29
	ds_load_b128 v[38:41], v29 offset:16
	s_waitcnt lgkmcnt(1)
	v_fma_f64 v[15:16], v[18:19], v[34:35], v[16:17]
	s_delay_alu instid0(VALU_DEP_1) | instskip(SKIP_3) | instid1(VALU_DEP_1)
	v_fma_f64 v[19:20], v[20:21], v[36:37], v[15:16]
	ds_load_2addr_b64 v[15:18], v28 offset0:64 offset1:96
	s_waitcnt lgkmcnt(0)
	v_fma_f64 v[15:16], v[15:16], v[38:39], v[19:20]
	v_fma_f64 v[19:20], v[17:18], v[40:41], v[15:16]
	ds_load_2addr_b64 v[15:18], v28 offset0:128 offset1:160
	ds_load_b128 v[34:37], v29 offset:32
	ds_load_b128 v[38:41], v29 offset:48
	s_waitcnt lgkmcnt(1)
	v_fma_f64 v[15:16], v[15:16], v[34:35], v[19:20]
	s_delay_alu instid0(VALU_DEP_1) | instskip(SKIP_3) | instid1(VALU_DEP_1)
	v_fma_f64 v[19:20], v[17:18], v[36:37], v[15:16]
	ds_load_2addr_b64 v[15:18], v28 offset0:192 offset1:224
	s_waitcnt lgkmcnt(0)
	v_fma_f64 v[15:16], v[15:16], v[38:39], v[19:20]
	v_fma_f64 v[19:20], v[17:18], v[40:41], v[15:16]
	ds_load_2addr_b64 v[15:18], v30 offset1:32
	ds_load_b128 v[34:37], v29 offset:64
	ds_load_b128 v[38:41], v29 offset:80
	s_waitcnt lgkmcnt(1)
	v_fma_f64 v[15:16], v[15:16], v[34:35], v[19:20]
	s_delay_alu instid0(VALU_DEP_1) | instskip(SKIP_3) | instid1(VALU_DEP_1)
	v_fma_f64 v[19:20], v[17:18], v[36:37], v[15:16]
	ds_load_2addr_b64 v[15:18], v30 offset0:64 offset1:96
	s_waitcnt lgkmcnt(0)
	v_fma_f64 v[15:16], v[15:16], v[38:39], v[19:20]
	v_fma_f64 v[19:20], v[17:18], v[40:41], v[15:16]
	ds_load_2addr_b64 v[15:18], v30 offset0:128 offset1:160
	ds_load_b128 v[34:37], v29 offset:96
	ds_load_b128 v[38:41], v29 offset:112
	s_waitcnt lgkmcnt(1)
	v_fma_f64 v[15:16], v[15:16], v[34:35], v[19:20]
	s_delay_alu instid0(VALU_DEP_1) | instskip(SKIP_3) | instid1(VALU_DEP_1)
	v_fma_f64 v[19:20], v[17:18], v[36:37], v[15:16]
	ds_load_2addr_b64 v[15:18], v30 offset0:192 offset1:224
	s_waitcnt lgkmcnt(0)
	v_fma_f64 v[15:16], v[15:16], v[38:39], v[19:20]
	v_fma_f64 v[19:20], v[17:18], v[40:41], v[15:16]
	ds_load_2addr_b64 v[15:18], v31 offset1:32
	ds_load_b128 v[34:37], v29 offset:128
	;; [unrolled: 22-line block ×3, first 2 shown]
	ds_load_b128 v[38:41], v29 offset:208
	s_waitcnt lgkmcnt(1)
	v_fma_f64 v[15:16], v[15:16], v[34:35], v[19:20]
	s_delay_alu instid0(VALU_DEP_1) | instskip(SKIP_3) | instid1(VALU_DEP_1)
	v_fma_f64 v[19:20], v[17:18], v[36:37], v[15:16]
	ds_load_2addr_b64 v[15:18], v32 offset0:64 offset1:96
	s_waitcnt lgkmcnt(0)
	v_fma_f64 v[15:16], v[15:16], v[38:39], v[19:20]
	v_fma_f64 v[19:20], v[17:18], v[40:41], v[15:16]
	ds_load_2addr_b64 v[15:18], v32 offset0:128 offset1:160
	ds_load_b128 v[34:37], v29 offset:224
	ds_load_b128 v[38:41], v29 offset:240
	s_waitcnt lgkmcnt(1)
	v_fma_f64 v[15:16], v[15:16], v[34:35], v[19:20]
	s_delay_alu instid0(VALU_DEP_1) | instskip(SKIP_3) | instid1(VALU_DEP_1)
	v_fma_f64 v[19:20], v[17:18], v[36:37], v[15:16]
	ds_load_2addr_b64 v[15:18], v32 offset0:192 offset1:224
	s_waitcnt lgkmcnt(0)
	v_fma_f64 v[15:16], v[15:16], v[38:39], v[19:20]
	v_fma_f64 v[16:17], v[17:18], v[40:41], v[15:16]
	s_branch .LBB4_14
.LBB4_33:                               ;   in Loop: Header=BB4_15 Depth=3
	s_mov_b32 s34, 0
                                        ; implicit-def: $vgpr18
                                        ; implicit-def: $sgpr8_sgpr9
	s_cbranch_execz .LBB4_29
.LBB4_34:                               ;   in Loop: Header=BB4_15 Depth=3
                                        ; implicit-def: $vgpr18
	s_and_saveexec_b32 s8, s35
; %bb.35:                               ;   in Loop: Header=BB4_15 Depth=3
	v_add_nc_u32_e32 v18, s33, v33
	s_or_b32 s34, s34, exec_lo
; %bb.36:                               ;   in Loop: Header=BB4_15 Depth=3
	s_or_b32 exec_lo, exec_lo, s8
	s_mov_b64 s[8:9], 0
	s_delay_alu instid0(SALU_CYCLE_1)
	v_dual_mov_b32 v20, s9 :: v_dual_mov_b32 v19, s8
	s_and_saveexec_b32 s8, s34
	s_cbranch_execnz .LBB4_30
	s_branch .LBB4_31
.LBB4_37:                               ;   in Loop: Header=BB4_10 Depth=1
	v_add_nc_u32_e32 v11, s13, v13
	s_and_b32 vcc_lo, exec_lo, s16
	s_delay_alu instid0(VALU_DEP_1)
	v_ashrrev_i32_e32 v18, 31, v11
	s_cbranch_vccz .LBB4_39
; %bb.38:                               ;   in Loop: Header=BB4_10 Depth=1
	v_mad_u64_u32 v[14:15], null, v11, s26, v[6:7]
	v_mul_lo_u32 v19, v11, s27
	s_delay_alu instid0(VALU_DEP_3) | instskip(NEXT) | instid1(VALU_DEP_1)
	v_mul_lo_u32 v20, v18, s26
	v_add3_u32 v15, v20, v15, v19
	s_cbranch_execz .LBB4_40
	s_branch .LBB4_41
.LBB4_39:                               ;   in Loop: Header=BB4_10 Depth=1
                                        ; implicit-def: $vgpr14_vgpr15
.LBB4_40:                               ;   in Loop: Header=BB4_10 Depth=1
	v_add_co_u32 v14, vcc_lo, v8, v11
	s_delay_alu instid0(VALU_DEP_2)
	v_add_co_ci_u32_e32 v15, vcc_lo, v9, v18, vcc_lo
.LBB4_41:                               ;   in Loop: Header=BB4_10 Depth=1
	v_cmp_gt_i32_e32 vcc_lo, s3, v13
	s_and_b32 s8, s20, vcc_lo
	s_delay_alu instid0(SALU_CYCLE_1)
	s_and_saveexec_b32 s2, s8
	s_cbranch_execz .LBB4_9
; %bb.42:                               ;   in Loop: Header=BB4_10 Depth=1
	v_mul_f64 v[16:17], v[1:2], v[16:17]
	v_lshlrev_b64 v[13:14], 3, v[14:15]
	s_and_saveexec_b32 s8, s0
	s_delay_alu instid0(SALU_CYCLE_1)
	s_xor_b32 s8, exec_lo, s8
	s_cbranch_execz .LBB4_44
; %bb.43:                               ;   in Loop: Header=BB4_10 Depth=1
	s_delay_alu instid0(VALU_DEP_1) | instskip(NEXT) | instid1(VALU_DEP_2)
	v_add_co_u32 v13, vcc_lo, s24, v13
	v_add_co_ci_u32_e32 v14, vcc_lo, s25, v14, vcc_lo
	global_load_b64 v[18:19], v[13:14], off
	s_waitcnt vmcnt(0)
	v_fma_f64 v[15:16], v[3:4], v[18:19], v[16:17]
	global_store_b64 v[13:14], v[15:16], off
                                        ; implicit-def: $vgpr13_vgpr14
                                        ; implicit-def: $vgpr16_vgpr17
.LBB4_44:                               ;   in Loop: Header=BB4_10 Depth=1
	s_and_not1_saveexec_b32 s8, s8
	s_cbranch_execz .LBB4_9
; %bb.45:                               ;   in Loop: Header=BB4_10 Depth=1
	v_add_co_u32 v13, vcc_lo, s24, v13
	v_add_co_ci_u32_e32 v14, vcc_lo, s25, v14, vcc_lo
	global_store_b64 v[13:14], v[16:17], off
	s_branch .LBB4_9
.LBB4_46:
	s_nop 0
	s_sendmsg sendmsg(MSG_DEALLOC_VGPRS)
	s_endpgm
	.section	.rodata,"a",@progbits
	.p2align	6, 0x0
	.amdhsa_kernel _ZN9rocsparseL30bellmm_general_blockdim_kernelILi32ELi32EdidddEEv20rocsparse_operation_S1_20rocsparse_direction_T2_S3_NS_24const_host_device_scalarIT1_EES3_S3_PKS3_PKT3_PKT4_l16rocsparse_order_S6_PT5_lSF_21rocsparse_index_base_b
		.amdhsa_group_segment_fixed_size 16384
		.amdhsa_private_segment_fixed_size 0
		.amdhsa_kernarg_size 116
		.amdhsa_user_sgpr_count 14
		.amdhsa_user_sgpr_dispatch_ptr 0
		.amdhsa_user_sgpr_queue_ptr 0
		.amdhsa_user_sgpr_kernarg_segment_ptr 1
		.amdhsa_user_sgpr_dispatch_id 0
		.amdhsa_user_sgpr_private_segment_size 0
		.amdhsa_wavefront_size32 1
		.amdhsa_uses_dynamic_stack 0
		.amdhsa_enable_private_segment 0
		.amdhsa_system_sgpr_workgroup_id_x 1
		.amdhsa_system_sgpr_workgroup_id_y 1
		.amdhsa_system_sgpr_workgroup_id_z 0
		.amdhsa_system_sgpr_workgroup_info 0
		.amdhsa_system_vgpr_workitem_id 1
		.amdhsa_next_free_vgpr 42
		.amdhsa_next_free_sgpr 37
		.amdhsa_reserve_vcc 1
		.amdhsa_float_round_mode_32 0
		.amdhsa_float_round_mode_16_64 0
		.amdhsa_float_denorm_mode_32 3
		.amdhsa_float_denorm_mode_16_64 3
		.amdhsa_dx10_clamp 1
		.amdhsa_ieee_mode 1
		.amdhsa_fp16_overflow 0
		.amdhsa_workgroup_processor_mode 1
		.amdhsa_memory_ordered 1
		.amdhsa_forward_progress 0
		.amdhsa_shared_vgpr_count 0
		.amdhsa_exception_fp_ieee_invalid_op 0
		.amdhsa_exception_fp_denorm_src 0
		.amdhsa_exception_fp_ieee_div_zero 0
		.amdhsa_exception_fp_ieee_overflow 0
		.amdhsa_exception_fp_ieee_underflow 0
		.amdhsa_exception_fp_ieee_inexact 0
		.amdhsa_exception_int_div_zero 0
	.end_amdhsa_kernel
	.section	.text._ZN9rocsparseL30bellmm_general_blockdim_kernelILi32ELi32EdidddEEv20rocsparse_operation_S1_20rocsparse_direction_T2_S3_NS_24const_host_device_scalarIT1_EES3_S3_PKS3_PKT3_PKT4_l16rocsparse_order_S6_PT5_lSF_21rocsparse_index_base_b,"axG",@progbits,_ZN9rocsparseL30bellmm_general_blockdim_kernelILi32ELi32EdidddEEv20rocsparse_operation_S1_20rocsparse_direction_T2_S3_NS_24const_host_device_scalarIT1_EES3_S3_PKS3_PKT3_PKT4_l16rocsparse_order_S6_PT5_lSF_21rocsparse_index_base_b,comdat
.Lfunc_end4:
	.size	_ZN9rocsparseL30bellmm_general_blockdim_kernelILi32ELi32EdidddEEv20rocsparse_operation_S1_20rocsparse_direction_T2_S3_NS_24const_host_device_scalarIT1_EES3_S3_PKS3_PKT3_PKT4_l16rocsparse_order_S6_PT5_lSF_21rocsparse_index_base_b, .Lfunc_end4-_ZN9rocsparseL30bellmm_general_blockdim_kernelILi32ELi32EdidddEEv20rocsparse_operation_S1_20rocsparse_direction_T2_S3_NS_24const_host_device_scalarIT1_EES3_S3_PKS3_PKT3_PKT4_l16rocsparse_order_S6_PT5_lSF_21rocsparse_index_base_b
                                        ; -- End function
	.section	.AMDGPU.csdata,"",@progbits
; Kernel info:
; codeLenInByte = 2160
; NumSgprs: 39
; NumVgprs: 42
; ScratchSize: 0
; MemoryBound: 0
; FloatMode: 240
; IeeeMode: 1
; LDSByteSize: 16384 bytes/workgroup (compile time only)
; SGPRBlocks: 4
; VGPRBlocks: 5
; NumSGPRsForWavesPerEU: 39
; NumVGPRsForWavesPerEU: 42
; Occupancy: 16
; WaveLimiterHint : 1
; COMPUTE_PGM_RSRC2:SCRATCH_EN: 0
; COMPUTE_PGM_RSRC2:USER_SGPR: 14
; COMPUTE_PGM_RSRC2:TRAP_HANDLER: 0
; COMPUTE_PGM_RSRC2:TGID_X_EN: 1
; COMPUTE_PGM_RSRC2:TGID_Y_EN: 1
; COMPUTE_PGM_RSRC2:TGID_Z_EN: 0
; COMPUTE_PGM_RSRC2:TIDIG_COMP_CNT: 1
	.section	.text._ZN9rocsparseL30bellmm_general_blockdim_kernelILi32ELi32EdldddEEv20rocsparse_operation_S1_20rocsparse_direction_T2_S3_NS_24const_host_device_scalarIT1_EES3_S3_PKS3_PKT3_PKT4_l16rocsparse_order_S6_PT5_lSF_21rocsparse_index_base_b,"axG",@progbits,_ZN9rocsparseL30bellmm_general_blockdim_kernelILi32ELi32EdldddEEv20rocsparse_operation_S1_20rocsparse_direction_T2_S3_NS_24const_host_device_scalarIT1_EES3_S3_PKS3_PKT3_PKT4_l16rocsparse_order_S6_PT5_lSF_21rocsparse_index_base_b,comdat
	.globl	_ZN9rocsparseL30bellmm_general_blockdim_kernelILi32ELi32EdldddEEv20rocsparse_operation_S1_20rocsparse_direction_T2_S3_NS_24const_host_device_scalarIT1_EES3_S3_PKS3_PKT3_PKT4_l16rocsparse_order_S6_PT5_lSF_21rocsparse_index_base_b ; -- Begin function _ZN9rocsparseL30bellmm_general_blockdim_kernelILi32ELi32EdldddEEv20rocsparse_operation_S1_20rocsparse_direction_T2_S3_NS_24const_host_device_scalarIT1_EES3_S3_PKS3_PKT3_PKT4_l16rocsparse_order_S6_PT5_lSF_21rocsparse_index_base_b
	.p2align	8
	.type	_ZN9rocsparseL30bellmm_general_blockdim_kernelILi32ELi32EdldddEEv20rocsparse_operation_S1_20rocsparse_direction_T2_S3_NS_24const_host_device_scalarIT1_EES3_S3_PKS3_PKT3_PKT4_l16rocsparse_order_S6_PT5_lSF_21rocsparse_index_base_b,@function
_ZN9rocsparseL30bellmm_general_blockdim_kernelILi32ELi32EdldddEEv20rocsparse_operation_S1_20rocsparse_direction_T2_S3_NS_24const_host_device_scalarIT1_EES3_S3_PKS3_PKT3_PKT4_l16rocsparse_order_S6_PT5_lSF_21rocsparse_index_base_b: ; @_ZN9rocsparseL30bellmm_general_blockdim_kernelILi32ELi32EdldddEEv20rocsparse_operation_S1_20rocsparse_direction_T2_S3_NS_24const_host_device_scalarIT1_EES3_S3_PKS3_PKT3_PKT4_l16rocsparse_order_S6_PT5_lSF_21rocsparse_index_base_b
; %bb.0:
	s_clause 0x2
	s_load_b128 s[24:27], s[0:1], 0x78
	s_load_b256 s[4:11], s[0:1], 0x10
	s_load_b64 s[12:13], s[0:1], 0x60
	s_mov_b32 s2, s15
	s_waitcnt lgkmcnt(0)
	s_bitcmp1_b32 s26, 0
	v_dual_mov_b32 v1, s8 :: v_dual_mov_b32 v2, s9
	s_cselect_b32 s3, -1, 0
	s_delay_alu instid0(SALU_CYCLE_1)
	s_and_b32 vcc_lo, exec_lo, s3
	s_xor_b32 s3, s3, -1
	s_cbranch_vccnz .LBB5_2
; %bb.1:
	v_dual_mov_b32 v1, s8 :: v_dual_mov_b32 v2, s9
	flat_load_b64 v[1:2], v[1:2]
.LBB5_2:
	v_dual_mov_b32 v3, s12 :: v_dual_mov_b32 v4, s13
	s_and_not1_b32 vcc_lo, exec_lo, s3
	s_cbranch_vccnz .LBB5_4
; %bb.3:
	v_dual_mov_b32 v3, s12 :: v_dual_mov_b32 v4, s13
	flat_load_b64 v[3:4], v[3:4]
.LBB5_4:
	s_waitcnt vmcnt(0) lgkmcnt(0)
	v_cmp_neq_f64_e32 vcc_lo, 0, v[1:2]
	v_cmp_neq_f64_e64 s3, 1.0, v[3:4]
	s_mov_b64 s[26:27], 0
	s_delay_alu instid0(VALU_DEP_1) | instskip(NEXT) | instid1(SALU_CYCLE_1)
	s_or_b32 s3, vcc_lo, s3
	s_and_saveexec_b32 s8, s3
	s_cbranch_execz .LBB5_45
; %bb.5:
	s_load_b64 s[12:13], s[0:1], 0x30
	s_mov_b32 s15, 0
	s_delay_alu instid0(SALU_CYCLE_1) | instskip(SKIP_1) | instid1(VALU_DEP_2)
	v_cmp_ge_i64_e64 s3, s[14:15], s[4:5]
	v_cmp_lt_i64_e64 s34, s[14:15], s[4:5]
	s_and_b32 vcc_lo, exec_lo, s3
	s_cbranch_vccnz .LBB5_9
; %bb.6:
	s_waitcnt lgkmcnt(0)
	s_or_b64 s[8:9], s[10:11], s[12:13]
	s_mov_b32 s8, s15
	s_delay_alu instid0(SALU_CYCLE_1)
	s_cmp_lg_u64 s[8:9], 0
	s_cbranch_scc0 .LBB5_46
; %bb.7:
	s_ashr_i32 s8, s13, 31
	s_delay_alu instid0(SALU_CYCLE_1) | instskip(SKIP_2) | instid1(SALU_CYCLE_1)
	s_add_u32 s16, s12, s8
	s_mov_b32 s9, s8
	s_addc_u32 s17, s13, s8
	s_xor_b64 s[16:17], s[16:17], s[8:9]
	s_delay_alu instid0(SALU_CYCLE_1) | instskip(SKIP_3) | instid1(VALU_DEP_1)
	v_cvt_f32_u32_e32 v5, s16
	v_cvt_f32_u32_e32 v6, s17
	s_sub_u32 s18, 0, s16
	s_subb_u32 s19, 0, s17
	v_fmamk_f32 v5, v6, 0x4f800000, v5
	s_delay_alu instid0(VALU_DEP_1) | instskip(SKIP_2) | instid1(VALU_DEP_1)
	v_rcp_f32_e32 v5, v5
	s_waitcnt_depctr 0xfff
	v_mul_f32_e32 v5, 0x5f7ffffc, v5
	v_mul_f32_e32 v6, 0x2f800000, v5
	s_delay_alu instid0(VALU_DEP_1) | instskip(NEXT) | instid1(VALU_DEP_1)
	v_trunc_f32_e32 v6, v6
	v_fmamk_f32 v5, v6, 0xcf800000, v5
	v_cvt_u32_f32_e32 v6, v6
	s_delay_alu instid0(VALU_DEP_2) | instskip(NEXT) | instid1(VALU_DEP_2)
	v_cvt_u32_f32_e32 v5, v5
	v_readfirstlane_b32 s3, v6
	s_delay_alu instid0(VALU_DEP_2) | instskip(NEXT) | instid1(VALU_DEP_2)
	v_readfirstlane_b32 s15, v5
	s_mul_i32 s20, s18, s3
	s_delay_alu instid0(VALU_DEP_1)
	s_mul_hi_u32 s22, s18, s15
	s_mul_i32 s21, s19, s15
	s_add_i32 s20, s22, s20
	s_mul_i32 s23, s18, s15
	s_add_i32 s20, s20, s21
	s_mul_hi_u32 s22, s15, s23
	s_mul_hi_u32 s26, s3, s23
	s_mul_i32 s21, s3, s23
	s_mul_hi_u32 s23, s15, s20
	s_mul_i32 s15, s15, s20
	s_mul_hi_u32 s27, s3, s20
	s_add_u32 s15, s22, s15
	s_addc_u32 s22, 0, s23
	s_add_u32 s15, s15, s21
	s_mul_i32 s20, s3, s20
	s_addc_u32 s15, s22, s26
	s_addc_u32 s21, s27, 0
	s_add_u32 s15, s15, s20
	s_addc_u32 s20, 0, s21
	v_add_co_u32 v5, s15, v5, s15
	s_delay_alu instid0(VALU_DEP_1) | instskip(SKIP_1) | instid1(VALU_DEP_1)
	s_cmp_lg_u32 s15, 0
	s_addc_u32 s3, s3, s20
	v_readfirstlane_b32 s15, v5
	s_mul_i32 s20, s18, s3
	s_delay_alu instid0(VALU_DEP_1)
	s_mul_hi_u32 s21, s18, s15
	s_mul_i32 s19, s19, s15
	s_add_i32 s20, s21, s20
	s_mul_i32 s18, s18, s15
	s_add_i32 s20, s20, s19
	s_mul_hi_u32 s21, s3, s18
	s_mul_i32 s22, s3, s18
	s_mul_hi_u32 s18, s15, s18
	s_mul_hi_u32 s23, s15, s20
	s_mul_i32 s15, s15, s20
	s_mul_hi_u32 s19, s3, s20
	s_add_u32 s15, s18, s15
	s_addc_u32 s18, 0, s23
	s_add_u32 s15, s15, s22
	s_mul_i32 s20, s3, s20
	s_addc_u32 s15, s18, s21
	s_addc_u32 s18, s19, 0
	s_add_u32 s15, s15, s20
	s_addc_u32 s18, 0, s18
	v_add_co_u32 v5, s15, v5, s15
	s_delay_alu instid0(VALU_DEP_1) | instskip(SKIP_2) | instid1(SALU_CYCLE_1)
	s_cmp_lg_u32 s15, 0
	s_addc_u32 s3, s3, s18
	s_ashr_i32 s18, s11, 31
	s_add_u32 s20, s10, s18
	s_addc_u32 s21, s11, s18
	v_readfirstlane_b32 s11, v5
	s_mov_b32 s19, s18
	s_delay_alu instid0(SALU_CYCLE_1) | instskip(NEXT) | instid1(SALU_CYCLE_1)
	s_xor_b64 s[20:21], s[20:21], s[18:19]
	s_mul_i32 s22, s20, s3
	s_delay_alu instid0(VALU_DEP_1)
	s_mul_hi_u32 s23, s20, s11
	s_mul_hi_u32 s15, s20, s3
	s_mul_hi_u32 s27, s21, s11
	s_mul_i32 s11, s21, s11
	s_add_u32 s22, s23, s22
	s_addc_u32 s15, 0, s15
	s_mul_hi_u32 s26, s21, s3
	s_add_u32 s11, s22, s11
	s_mul_i32 s3, s21, s3
	s_addc_u32 s11, s15, s27
	s_addc_u32 s15, s26, 0
	s_add_u32 s3, s11, s3
	s_addc_u32 s11, 0, s15
	s_mul_i32 s26, s16, s3
	s_mul_hi_u32 s15, s16, s3
	s_mul_i32 s23, s16, s11
	v_sub_co_u32 v5, s20, s20, s26
	s_mul_i32 s22, s17, s3
	s_add_i32 s15, s15, s23
	s_delay_alu instid0(SALU_CYCLE_1) | instskip(NEXT) | instid1(VALU_DEP_1)
	s_add_i32 s15, s15, s22
	v_sub_co_u32 v6, s23, v5, s16
	s_sub_i32 s22, s21, s15
	s_cmp_lg_u32 s20, 0
	s_subb_u32 s22, s22, s17
	s_cmp_lg_u32 s23, 0
	v_readfirstlane_b32 s23, v6
	s_subb_u32 s22, s22, 0
	s_delay_alu instid0(SALU_CYCLE_1) | instskip(SKIP_1) | instid1(VALU_DEP_1)
	s_cmp_ge_u32 s22, s17
	s_cselect_b32 s26, -1, 0
	s_cmp_ge_u32 s23, s16
	s_cselect_b32 s23, -1, 0
	s_cmp_eq_u32 s22, s17
	s_cselect_b32 s22, s23, s26
	s_add_u32 s23, s3, 1
	s_addc_u32 s26, s11, 0
	s_add_u32 s27, s3, 2
	s_addc_u32 s28, s11, 0
	s_cmp_lg_u32 s22, 0
	s_cselect_b32 s22, s27, s23
	s_cselect_b32 s23, s28, s26
	s_cmp_lg_u32 s20, 0
	v_readfirstlane_b32 s20, v5
	s_subb_u32 s15, s21, s15
	s_delay_alu instid0(SALU_CYCLE_1) | instskip(SKIP_1) | instid1(VALU_DEP_1)
	s_cmp_ge_u32 s15, s17
	s_cselect_b32 s21, -1, 0
	s_cmp_ge_u32 s20, s16
	s_cselect_b32 s16, -1, 0
	s_cmp_eq_u32 s15, s17
	s_cselect_b32 s15, s16, s21
	s_delay_alu instid0(SALU_CYCLE_1) | instskip(SKIP_3) | instid1(SALU_CYCLE_1)
	s_cmp_lg_u32 s15, 0
	s_cselect_b32 s17, s23, s11
	s_cselect_b32 s16, s22, s3
	s_xor_b64 s[8:9], s[18:19], s[8:9]
	s_xor_b64 s[16:17], s[16:17], s[8:9]
	s_delay_alu instid0(SALU_CYCLE_1)
	s_sub_u32 s26, s16, s8
	s_subb_u32 s27, s17, s9
	s_cbranch_execnz .LBB5_9
.LBB5_8:
	v_cvt_f32_u32_e32 v5, s12
	s_sub_i32 s8, 0, s12
	s_mov_b32 s27, 0
	s_delay_alu instid0(VALU_DEP_1) | instskip(SKIP_2) | instid1(VALU_DEP_1)
	v_rcp_iflag_f32_e32 v5, v5
	s_waitcnt_depctr 0xfff
	v_mul_f32_e32 v5, 0x4f7ffffe, v5
	v_cvt_u32_f32_e32 v5, v5
	s_delay_alu instid0(VALU_DEP_1) | instskip(NEXT) | instid1(VALU_DEP_1)
	v_readfirstlane_b32 s3, v5
	s_mul_i32 s8, s8, s3
	s_delay_alu instid0(SALU_CYCLE_1) | instskip(NEXT) | instid1(SALU_CYCLE_1)
	s_mul_hi_u32 s8, s3, s8
	s_add_i32 s3, s3, s8
	s_delay_alu instid0(SALU_CYCLE_1) | instskip(NEXT) | instid1(SALU_CYCLE_1)
	s_mul_hi_u32 s3, s10, s3
	s_mul_i32 s8, s3, s12
	s_add_i32 s9, s3, 1
	s_sub_i32 s8, s10, s8
	s_delay_alu instid0(SALU_CYCLE_1)
	s_sub_i32 s10, s8, s12
	s_cmp_ge_u32 s8, s12
	s_cselect_b32 s3, s9, s3
	s_cselect_b32 s8, s10, s8
	s_add_i32 s9, s3, 1
	s_cmp_ge_u32 s8, s12
	s_cselect_b32 s26, s9, s3
.LBB5_9:
	s_waitcnt lgkmcnt(0)
	v_cmp_lt_i64_e64 s3, s[12:13], 1
	s_delay_alu instid0(VALU_DEP_1)
	s_and_b32 vcc_lo, exec_lo, s3
	s_cbranch_vccnz .LBB5_45
; %bb.10:
	s_clause 0x3
	s_load_b64 s[36:37], s[0:1], 0x4
	s_load_b256 s[16:23], s[0:1], 0x38
	s_load_b128 s[8:11], s[0:1], 0x68
	s_load_b32 s0, s[0:1], 0x58
	v_bfe_u32 v29, v0, 10, 10
	s_lshl_b32 s2, s2, 5
	s_mul_i32 s3, s12, s13
	s_mul_hi_u32 s15, s12, s12
	s_delay_alu instid0(VALU_DEP_1) | instskip(SKIP_1) | instid1(VALU_DEP_1)
	v_dual_mov_b32 v10, 0 :: v_dual_lshlrev_b32 v9, 5, v29
	v_add_co_u32 v5, s1, s2, v29
	v_add_co_ci_u32_e64 v6, null, 0, 0, s1
	s_mul_i32 s1, s14, s13
	s_mul_hi_u32 s2, s14, s12
	v_and_b32_e32 v0, 0x3ff, v0
	s_add_i32 s29, s2, s1
	s_add_i32 s1, s15, s3
	v_lshlrev_b64 v[7:8], 3, v[5:6]
	s_add_i32 s3, s1, s3
	s_waitcnt lgkmcnt(0)
	s_cmpk_eq_i32 s36, 0x6f
	v_mul_lo_u32 v14, s23, v5
	s_cselect_b32 s1, -1, 0
	s_cmp_lg_u32 s0, 1
	v_mul_lo_u32 v15, s22, v6
	s_cselect_b32 s2, -1, 0
	s_cmp_lg_u32 s37, 0
	v_mad_u64_u32 v[11:12], null, s22, v5, 0
	s_cselect_b32 s40, -1, 0
	s_cmp_lg_u32 s24, 1
	v_add_co_u32 v30, vcc_lo, s20, v7
	s_cselect_b32 s41, -1, 0
	s_xor_b32 s2, s1, s2
	v_cmp_neq_f64_e64 s1, 0, v[3:4]
	v_add_co_ci_u32_e32 v31, vcc_lo, s21, v8, vcc_lo
	v_add_lshl_u32 v32, v9, v0, 3
	v_mul_lo_u32 v9, v6, s10
	v_mul_lo_u32 v13, v5, s11
	v_mad_u64_u32 v[7:8], null, v5, s10, 0
	v_add3_u32 v12, v12, v15, v14
	v_lshlrev_b32_e32 v34, 3, v0
	s_mul_i32 s28, s14, s12
	v_cmp_gt_i64_e64 s0, s[6:7], v[5:6]
	s_lshl_b64 s[6:7], s[28:29], 3
	v_lshlrev_b64 v[11:12], 3, v[11:12]
	v_add3_u32 v8, v8, v13, v9
	s_xor_b32 s43, s2, -1
	v_add_co_u32 v13, s2, s6, v34
	s_delay_alu instid0(VALU_DEP_1) | instskip(SKIP_3) | instid1(VALU_DEP_4)
	v_add_co_ci_u32_e64 v14, null, s7, 0, s2
	v_lshlrev_b32_e32 v9, 3, v29
	v_add_co_u32 v15, vcc_lo, v11, v34
	v_add_co_ci_u32_e32 v16, vcc_lo, 0, v12, vcc_lo
	v_mul_lo_u32 v14, s12, v14
	v_mul_lo_u32 v17, s13, v13
	v_mad_u64_u32 v[11:12], null, s12, v13, v[9:10]
	s_mul_i32 s15, s12, s12
	v_add_co_u32 v9, vcc_lo, s20, v15
	v_add_co_ci_u32_e32 v10, vcc_lo, s21, v16, vcc_lo
	s_mul_i32 s2, s15, s5
	s_delay_alu instid0(VALU_DEP_3) | instskip(SKIP_1) | instid1(VALU_DEP_4)
	v_add3_u32 v12, v17, v12, v14
	s_mul_hi_u32 s20, s15, s4
	v_add_co_u32 v11, vcc_lo, s18, v11
	s_add_i32 s2, s20, s2
	s_mul_i32 s20, s3, s4
	v_cmp_gt_i64_e64 s44, s[26:27], 0
	v_add_nc_u32_e32 v33, 0x2000, v32
	v_lshl_add_u32 v35, v29, 8, 0x2000
	v_add_co_ci_u32_e32 v12, vcc_lo, s19, v12, vcc_lo
	s_mov_b32 s33, s25
	s_add_i32 s25, s2, s20
	s_mul_i32 s24, s15, s4
	s_mov_b64 s[30:31], 0
	s_and_b32 s42, s34, s0
	s_lshl_b64 s[6:7], s[12:13], 3
	s_lshl_b64 s[20:21], s[12:13], 8
	;; [unrolled: 1-line block ×3, first 2 shown]
	s_branch .LBB5_12
.LBB5_11:                               ;   in Loop: Header=BB5_12 Depth=1
	s_or_b32 exec_lo, exec_lo, s2
	s_add_u32 s30, s30, 32
	s_addc_u32 s31, s31, 0
	v_add_co_u32 v11, vcc_lo, v11, s20
	v_cmp_lt_i64_e64 s2, s[30:31], s[12:13]
	v_add_co_ci_u32_e32 v12, vcc_lo, s21, v12, vcc_lo
	s_delay_alu instid0(VALU_DEP_2)
	s_and_b32 vcc_lo, exec_lo, s2
	s_cbranch_vccz .LBB5_45
.LBB5_12:                               ; =>This Loop Header: Depth=1
                                        ;     Child Loop BB5_15 Depth 2
                                        ;       Child Loop BB5_17 Depth 3
	v_add_co_u32 v13, s2, s30, v0
	s_delay_alu instid0(VALU_DEP_1) | instskip(SKIP_1) | instid1(VALU_DEP_1)
	v_add_co_ci_u32_e64 v14, null, s31, 0, s2
	s_and_not1_b32 vcc_lo, exec_lo, s44
	v_cmp_gt_i64_e64 s2, s[12:13], v[13:14]
	s_cbranch_vccnz .LBB5_35
; %bb.13:                               ;   in Loop: Header=BB5_12 Depth=1
	v_lshlrev_b64 v[15:16], 3, v[13:14]
	v_mov_b32_e32 v21, 0
	v_mov_b32_e32 v22, 0
	s_mov_b64 s[34:35], 0
	s_delay_alu instid0(VALU_DEP_3) | instskip(NEXT) | instid1(VALU_DEP_4)
	v_add_co_u32 v36, vcc_lo, s18, v15
	v_add_co_ci_u32_e32 v37, vcc_lo, s19, v16, vcc_lo
	v_dual_mov_b32 v16, v12 :: v_dual_mov_b32 v15, v11
	s_branch .LBB5_15
.LBB5_14:                               ;   in Loop: Header=BB5_15 Depth=2
	v_add_co_u32 v15, vcc_lo, v15, s24
	s_add_u32 s34, s34, 1
	v_add_co_ci_u32_e32 v16, vcc_lo, s25, v16, vcc_lo
	s_addc_u32 s35, s35, 0
	s_delay_alu instid0(SALU_CYCLE_1)
	s_cmp_eq_u64 s[34:35], s[26:27]
	s_cbranch_scc1 .LBB5_36
.LBB5_15:                               ;   Parent Loop BB5_12 Depth=1
                                        ; =>  This Loop Header: Depth=2
                                        ;       Child Loop BB5_17 Depth 3
	s_mul_i32 s36, s34, s5
	s_mul_hi_u32 s37, s34, s4
	s_mul_i32 s38, s34, s4
	s_add_i32 s36, s37, s36
	s_mul_i32 s37, s35, s4
	v_dual_mov_b32 v20, v16 :: v_dual_mov_b32 v19, v15
	s_add_i32 s37, s36, s37
	s_add_u32 s36, s38, s14
	s_addc_u32 s37, s37, 0
	s_mul_hi_u32 s38, s15, s36
	s_mul_i32 s39, s15, s37
	s_mul_i32 s46, s3, s36
	s_add_i32 s45, s38, s39
	s_lshl_b64 s[38:39], s[36:37], 3
	s_add_i32 s37, s45, s46
	s_add_u32 s38, s16, s38
	s_addc_u32 s39, s17, s39
	s_mul_i32 s36, s15, s36
	s_load_b64 s[38:39], s[38:39], 0x0
	s_waitcnt lgkmcnt(0)
	s_sub_u32 s38, s38, s33
	s_subb_u32 s39, s39, 0
	v_mad_u64_u32 v[17:18], null, s6, s38, v[9:10]
	s_lshl_b64 s[36:37], s[36:37], 3
	s_mul_i32 s48, s7, s38
	v_add_co_u32 v38, vcc_lo, v36, s36
	s_mul_i32 s36, s6, s39
	s_mul_i32 s46, s38, s13
	s_mul_hi_u32 s47, s38, s12
	v_cmp_gt_i64_e64 s45, s[38:39], -1
	v_add_co_ci_u32_e32 v39, vcc_lo, s37, v37, vcc_lo
	v_add3_u32 v18, s36, s48, v18
	s_mul_i32 s49, s39, s12
	s_add_i32 s37, s47, s46
	s_mul_i32 s47, s38, s12
	s_add_i32 s46, s37, s49
	s_mov_b64 s[36:37], 0
	s_branch .LBB5_17
.LBB5_16:                               ;   in Loop: Header=BB5_17 Depth=3
	s_add_u32 s36, s36, 32
	s_addc_u32 s37, s37, 0
	v_add_co_u32 v17, vcc_lo, 0x100, v17
	v_cmp_ge_i64_e64 s38, s[36:37], s[12:13]
	v_add_co_ci_u32_e32 v18, vcc_lo, 0, v18, vcc_lo
	v_add_co_u32 v19, vcc_lo, 0x100, v19
	v_add_co_ci_u32_e32 v20, vcc_lo, 0, v20, vcc_lo
	s_delay_alu instid0(VALU_DEP_4)
	s_and_b32 vcc_lo, exec_lo, s38
	s_barrier
	buffer_gl0_inv
	s_cbranch_vccnz .LBB5_14
.LBB5_17:                               ;   Parent Loop BB5_12 Depth=1
                                        ;     Parent Loop BB5_15 Depth=2
                                        ; =>    This Inner Loop Header: Depth=3
	v_add_co_u32 v25, s38, s36, v0
	s_delay_alu instid0(VALU_DEP_1) | instskip(NEXT) | instid1(VALU_DEP_1)
	v_add_co_ci_u32_e64 v26, null, s37, 0, s38
	v_cmp_gt_i64_e32 vcc_lo, s[12:13], v[25:26]
	s_and_b32 s38, s0, vcc_lo
	s_and_b32 vcc_lo, exec_lo, s43
	s_and_b32 s49, s38, s45
	s_cbranch_vccz .LBB5_21
; %bb.18:                               ;   in Loop: Header=BB5_17 Depth=3
	s_mov_b32 s50, 0
	s_mov_b32 s48, 0
                                        ; implicit-def: $vgpr23_vgpr24
	s_and_saveexec_b32 s38, s49
	s_delay_alu instid0(SALU_CYCLE_1)
	s_xor_b32 s38, exec_lo, s38
; %bb.19:                               ;   in Loop: Header=BB5_17 Depth=3
	v_add_co_u32 v25, vcc_lo, v25, s47
	v_add_co_ci_u32_e32 v23, vcc_lo, s46, v26, vcc_lo
	s_mov_b32 s48, exec_lo
	s_delay_alu instid0(VALU_DEP_2) | instskip(NEXT) | instid1(VALU_DEP_2)
	v_mul_lo_u32 v27, v25, s23
	v_mul_lo_u32 v26, v23, s22
	v_mad_u64_u32 v[23:24], null, v25, s22, 0
	s_delay_alu instid0(VALU_DEP_1) | instskip(NEXT) | instid1(VALU_DEP_1)
	v_add3_u32 v24, v24, v27, v26
	v_lshlrev_b64 v[23:24], 3, v[23:24]
	s_delay_alu instid0(VALU_DEP_1) | instskip(NEXT) | instid1(VALU_DEP_2)
	v_add_co_u32 v23, vcc_lo, v30, v23
	v_add_co_ci_u32_e32 v24, vcc_lo, v31, v24, vcc_lo
; %bb.20:                               ;   in Loop: Header=BB5_17 Depth=3
	s_or_b32 exec_lo, exec_lo, s38
	s_mov_b64 s[38:39], 0
	s_and_b32 vcc_lo, exec_lo, s50
	s_cbranch_vccnz .LBB5_22
	s_branch .LBB5_23
.LBB5_21:                               ;   in Loop: Header=BB5_17 Depth=3
	s_mov_b32 s48, 0
                                        ; implicit-def: $vgpr23_vgpr24
                                        ; implicit-def: $sgpr38_sgpr39
	s_cbranch_execz .LBB5_23
.LBB5_22:                               ;   in Loop: Header=BB5_17 Depth=3
	v_dual_mov_b32 v24, v18 :: v_dual_mov_b32 v23, v17
	s_and_not1_b32 s48, s48, exec_lo
	s_and_b32 s49, s49, exec_lo
	s_mov_b64 s[38:39], 0
	s_or_b32 s48, s48, s49
.LBB5_23:                               ;   in Loop: Header=BB5_17 Depth=3
	v_dual_mov_b32 v27, s38 :: v_dual_mov_b32 v28, s39
	s_and_saveexec_b32 s38, s48
	s_cbranch_execz .LBB5_25
; %bb.24:                               ;   in Loop: Header=BB5_17 Depth=3
	global_load_b64 v[27:28], v[23:24], off
.LBB5_25:                               ;   in Loop: Header=BB5_17 Depth=3
	s_or_b32 exec_lo, exec_lo, s38
	v_add_co_u32 v25, s38, s36, v29
	s_delay_alu instid0(VALU_DEP_1)
	v_add_co_ci_u32_e64 v26, null, s37, 0, s38
	s_waitcnt vmcnt(0)
	ds_store_b64 v33, v[27:28]
	v_cmp_gt_i64_e32 vcc_lo, s[12:13], v[25:26]
	s_and_b32 s38, s2, vcc_lo
	s_and_b32 vcc_lo, exec_lo, s40
	s_and_b32 s49, s38, s45
	s_cbranch_vccz .LBB5_34
; %bb.26:                               ;   in Loop: Header=BB5_17 Depth=3
	s_mov_b32 s50, 0
	s_mov_b32 s48, 0
                                        ; implicit-def: $vgpr23_vgpr24
	s_and_saveexec_b32 s38, s49
	s_delay_alu instid0(SALU_CYCLE_1)
	s_xor_b32 s38, exec_lo, s38
; %bb.27:                               ;   in Loop: Header=BB5_17 Depth=3
	v_mul_lo_u32 v26, v26, s12
	v_mul_lo_u32 v27, v25, s13
	v_mad_u64_u32 v[23:24], null, v25, s12, 0
	s_mov_b32 s48, exec_lo
	s_delay_alu instid0(VALU_DEP_1) | instskip(NEXT) | instid1(VALU_DEP_1)
	v_add3_u32 v24, v24, v27, v26
	v_lshlrev_b64 v[23:24], 3, v[23:24]
	s_delay_alu instid0(VALU_DEP_1) | instskip(NEXT) | instid1(VALU_DEP_2)
	v_add_co_u32 v23, vcc_lo, v38, v23
	v_add_co_ci_u32_e32 v24, vcc_lo, v39, v24, vcc_lo
; %bb.28:                               ;   in Loop: Header=BB5_17 Depth=3
	s_or_b32 exec_lo, exec_lo, s38
	s_mov_b64 s[38:39], 0
	s_and_b32 vcc_lo, exec_lo, s50
	s_cbranch_vccz .LBB5_30
.LBB5_29:                               ;   in Loop: Header=BB5_17 Depth=3
	v_dual_mov_b32 v24, v20 :: v_dual_mov_b32 v23, v19
	s_and_not1_b32 s48, s48, exec_lo
	s_and_b32 s49, s49, exec_lo
	s_mov_b64 s[38:39], 0
	s_or_b32 s48, s48, s49
.LBB5_30:                               ;   in Loop: Header=BB5_17 Depth=3
	v_dual_mov_b32 v25, s38 :: v_dual_mov_b32 v26, s39
	s_and_saveexec_b32 s38, s48
	s_cbranch_execz .LBB5_32
; %bb.31:                               ;   in Loop: Header=BB5_17 Depth=3
	global_load_b64 v[25:26], v[23:24], off
.LBB5_32:                               ;   in Loop: Header=BB5_17 Depth=3
	s_or_b32 exec_lo, exec_lo, s38
	s_delay_alu instid0(SALU_CYCLE_1)
	s_and_not1_b32 vcc_lo, exec_lo, s45
	s_waitcnt vmcnt(0)
	ds_store_b64 v32, v[25:26]
	s_waitcnt lgkmcnt(0)
	s_waitcnt_vscnt null, 0x0
	s_barrier
	buffer_gl0_inv
	s_cbranch_vccnz .LBB5_16
; %bb.33:                               ;   in Loop: Header=BB5_17 Depth=3
	ds_load_2addr_b64 v[23:26], v34 offset1:32
	ds_load_b128 v[40:43], v35
	ds_load_b128 v[44:47], v35 offset:16
	s_waitcnt lgkmcnt(1)
	v_fma_f64 v[21:22], v[23:24], v[40:41], v[21:22]
	s_delay_alu instid0(VALU_DEP_1) | instskip(SKIP_3) | instid1(VALU_DEP_1)
	v_fma_f64 v[25:26], v[25:26], v[42:43], v[21:22]
	ds_load_2addr_b64 v[21:24], v34 offset0:64 offset1:96
	s_waitcnt lgkmcnt(0)
	v_fma_f64 v[21:22], v[21:22], v[44:45], v[25:26]
	v_fma_f64 v[44:45], v[23:24], v[46:47], v[21:22]
	ds_load_2addr_b64 v[21:24], v34 offset0:128 offset1:160
	ds_load_b128 v[25:28], v35 offset:32
	ds_load_b128 v[40:43], v35 offset:48
	v_add_nc_u32_e32 v46, 0x800, v34
	s_waitcnt lgkmcnt(1)
	v_fma_f64 v[21:22], v[21:22], v[25:26], v[44:45]
	s_delay_alu instid0(VALU_DEP_1) | instskip(SKIP_3) | instid1(VALU_DEP_1)
	v_fma_f64 v[25:26], v[23:24], v[27:28], v[21:22]
	ds_load_2addr_b64 v[21:24], v34 offset0:192 offset1:224
	s_waitcnt lgkmcnt(0)
	v_fma_f64 v[21:22], v[21:22], v[40:41], v[25:26]
	v_fma_f64 v[44:45], v[23:24], v[42:43], v[21:22]
	ds_load_2addr_b64 v[21:24], v46 offset1:32
	ds_load_b128 v[25:28], v35 offset:64
	ds_load_b128 v[40:43], v35 offset:80
	s_waitcnt lgkmcnt(1)
	v_fma_f64 v[21:22], v[21:22], v[25:26], v[44:45]
	s_delay_alu instid0(VALU_DEP_1) | instskip(SKIP_3) | instid1(VALU_DEP_1)
	v_fma_f64 v[25:26], v[23:24], v[27:28], v[21:22]
	ds_load_2addr_b64 v[21:24], v46 offset0:64 offset1:96
	s_waitcnt lgkmcnt(0)
	v_fma_f64 v[21:22], v[21:22], v[40:41], v[25:26]
	v_fma_f64 v[44:45], v[23:24], v[42:43], v[21:22]
	ds_load_2addr_b64 v[21:24], v46 offset0:128 offset1:160
	ds_load_b128 v[25:28], v35 offset:96
	ds_load_b128 v[40:43], v35 offset:112
	s_waitcnt lgkmcnt(1)
	v_fma_f64 v[21:22], v[21:22], v[25:26], v[44:45]
	s_delay_alu instid0(VALU_DEP_1) | instskip(SKIP_4) | instid1(VALU_DEP_1)
	v_fma_f64 v[25:26], v[23:24], v[27:28], v[21:22]
	ds_load_2addr_b64 v[21:24], v46 offset0:192 offset1:224
	v_add_nc_u32_e32 v46, 0x1000, v34
	s_waitcnt lgkmcnt(0)
	v_fma_f64 v[21:22], v[21:22], v[40:41], v[25:26]
	v_fma_f64 v[44:45], v[23:24], v[42:43], v[21:22]
	ds_load_2addr_b64 v[21:24], v46 offset1:32
	ds_load_b128 v[25:28], v35 offset:128
	ds_load_b128 v[40:43], v35 offset:144
	s_waitcnt lgkmcnt(1)
	v_fma_f64 v[21:22], v[21:22], v[25:26], v[44:45]
	s_delay_alu instid0(VALU_DEP_1) | instskip(SKIP_3) | instid1(VALU_DEP_1)
	v_fma_f64 v[25:26], v[23:24], v[27:28], v[21:22]
	ds_load_2addr_b64 v[21:24], v46 offset0:64 offset1:96
	s_waitcnt lgkmcnt(0)
	v_fma_f64 v[21:22], v[21:22], v[40:41], v[25:26]
	v_fma_f64 v[44:45], v[23:24], v[42:43], v[21:22]
	ds_load_2addr_b64 v[21:24], v46 offset0:128 offset1:160
	ds_load_b128 v[25:28], v35 offset:160
	ds_load_b128 v[40:43], v35 offset:176
	s_waitcnt lgkmcnt(1)
	v_fma_f64 v[21:22], v[21:22], v[25:26], v[44:45]
	s_delay_alu instid0(VALU_DEP_1) | instskip(SKIP_4) | instid1(VALU_DEP_1)
	v_fma_f64 v[25:26], v[23:24], v[27:28], v[21:22]
	ds_load_2addr_b64 v[21:24], v46 offset0:192 offset1:224
	v_add_nc_u32_e32 v46, 0x1800, v34
	s_waitcnt lgkmcnt(0)
	v_fma_f64 v[21:22], v[21:22], v[40:41], v[25:26]
	v_fma_f64 v[44:45], v[23:24], v[42:43], v[21:22]
	ds_load_2addr_b64 v[21:24], v46 offset1:32
	ds_load_b128 v[25:28], v35 offset:192
	ds_load_b128 v[40:43], v35 offset:208
	s_waitcnt lgkmcnt(1)
	v_fma_f64 v[21:22], v[21:22], v[25:26], v[44:45]
	s_delay_alu instid0(VALU_DEP_1) | instskip(SKIP_3) | instid1(VALU_DEP_1)
	v_fma_f64 v[25:26], v[23:24], v[27:28], v[21:22]
	ds_load_2addr_b64 v[21:24], v46 offset0:64 offset1:96
	s_waitcnt lgkmcnt(0)
	v_fma_f64 v[21:22], v[21:22], v[40:41], v[25:26]
	v_fma_f64 v[44:45], v[23:24], v[42:43], v[21:22]
	ds_load_2addr_b64 v[21:24], v46 offset0:128 offset1:160
	ds_load_b128 v[25:28], v35 offset:224
	ds_load_b128 v[40:43], v35 offset:240
	s_waitcnt lgkmcnt(1)
	v_fma_f64 v[21:22], v[21:22], v[25:26], v[44:45]
	s_delay_alu instid0(VALU_DEP_1) | instskip(SKIP_3) | instid1(VALU_DEP_1)
	v_fma_f64 v[25:26], v[23:24], v[27:28], v[21:22]
	ds_load_2addr_b64 v[21:24], v46 offset0:192 offset1:224
	s_waitcnt lgkmcnt(0)
	v_fma_f64 v[21:22], v[21:22], v[40:41], v[25:26]
	v_fma_f64 v[21:22], v[23:24], v[42:43], v[21:22]
	s_branch .LBB5_16
.LBB5_34:                               ;   in Loop: Header=BB5_17 Depth=3
	s_mov_b32 s48, 0
                                        ; implicit-def: $vgpr23_vgpr24
                                        ; implicit-def: $sgpr38_sgpr39
	s_cbranch_execnz .LBB5_29
	s_branch .LBB5_30
.LBB5_35:                               ;   in Loop: Header=BB5_12 Depth=1
	v_mov_b32_e32 v21, 0
	v_mov_b32_e32 v22, 0
.LBB5_36:                               ;   in Loop: Header=BB5_12 Depth=1
	v_add_co_u32 v17, vcc_lo, v13, s28
	v_add_co_ci_u32_e32 v18, vcc_lo, s29, v14, vcc_lo
	s_and_b32 vcc_lo, exec_lo, s41
	s_cbranch_vccz .LBB5_38
; %bb.37:                               ;   in Loop: Header=BB5_12 Depth=1
	s_delay_alu instid0(VALU_DEP_2) | instskip(SKIP_2) | instid1(VALU_DEP_1)
	v_mad_u64_u32 v[15:16], null, v17, s10, v[5:6]
	v_mul_lo_u32 v19, v17, s11
	v_mul_lo_u32 v20, v18, s10
	v_add3_u32 v16, v20, v16, v19
	s_cbranch_execz .LBB5_39
	s_branch .LBB5_40
.LBB5_38:                               ;   in Loop: Header=BB5_12 Depth=1
                                        ; implicit-def: $vgpr15_vgpr16
.LBB5_39:                               ;   in Loop: Header=BB5_12 Depth=1
	s_delay_alu instid0(VALU_DEP_2) | instskip(NEXT) | instid1(VALU_DEP_2)
	v_add_co_u32 v15, vcc_lo, v17, v7
	v_add_co_ci_u32_e32 v16, vcc_lo, v18, v8, vcc_lo
.LBB5_40:                               ;   in Loop: Header=BB5_12 Depth=1
	v_cmp_gt_i64_e32 vcc_lo, s[12:13], v[13:14]
	s_and_b32 s34, s42, vcc_lo
	s_delay_alu instid0(SALU_CYCLE_1)
	s_and_saveexec_b32 s2, s34
	s_cbranch_execz .LBB5_11
; %bb.41:                               ;   in Loop: Header=BB5_12 Depth=1
	v_mul_f64 v[13:14], v[1:2], v[21:22]
	v_lshlrev_b64 v[15:16], 3, v[15:16]
	s_and_saveexec_b32 s34, s1
	s_delay_alu instid0(SALU_CYCLE_1)
	s_xor_b32 s34, exec_lo, s34
	s_cbranch_execz .LBB5_43
; %bb.42:                               ;   in Loop: Header=BB5_12 Depth=1
	s_delay_alu instid0(VALU_DEP_1) | instskip(NEXT) | instid1(VALU_DEP_2)
	v_add_co_u32 v15, vcc_lo, s8, v15
	v_add_co_ci_u32_e32 v16, vcc_lo, s9, v16, vcc_lo
	global_load_b64 v[17:18], v[15:16], off
	s_waitcnt vmcnt(0)
	v_fma_f64 v[13:14], v[3:4], v[17:18], v[13:14]
	global_store_b64 v[15:16], v[13:14], off
                                        ; implicit-def: $vgpr15_vgpr16
                                        ; implicit-def: $vgpr13_vgpr14
.LBB5_43:                               ;   in Loop: Header=BB5_12 Depth=1
	s_and_not1_saveexec_b32 s34, s34
	s_cbranch_execz .LBB5_11
; %bb.44:                               ;   in Loop: Header=BB5_12 Depth=1
	v_add_co_u32 v15, vcc_lo, s8, v15
	v_add_co_ci_u32_e32 v16, vcc_lo, s9, v16, vcc_lo
	global_store_b64 v[15:16], v[13:14], off
	s_branch .LBB5_11
.LBB5_45:
	s_nop 0
	s_sendmsg sendmsg(MSG_DEALLOC_VGPRS)
	s_endpgm
.LBB5_46:
                                        ; implicit-def: $sgpr26_sgpr27
	s_branch .LBB5_8
	.section	.rodata,"a",@progbits
	.p2align	6, 0x0
	.amdhsa_kernel _ZN9rocsparseL30bellmm_general_blockdim_kernelILi32ELi32EdldddEEv20rocsparse_operation_S1_20rocsparse_direction_T2_S3_NS_24const_host_device_scalarIT1_EES3_S3_PKS3_PKT3_PKT4_l16rocsparse_order_S6_PT5_lSF_21rocsparse_index_base_b
		.amdhsa_group_segment_fixed_size 16384
		.amdhsa_private_segment_fixed_size 0
		.amdhsa_kernarg_size 132
		.amdhsa_user_sgpr_count 14
		.amdhsa_user_sgpr_dispatch_ptr 0
		.amdhsa_user_sgpr_queue_ptr 0
		.amdhsa_user_sgpr_kernarg_segment_ptr 1
		.amdhsa_user_sgpr_dispatch_id 0
		.amdhsa_user_sgpr_private_segment_size 0
		.amdhsa_wavefront_size32 1
		.amdhsa_uses_dynamic_stack 0
		.amdhsa_enable_private_segment 0
		.amdhsa_system_sgpr_workgroup_id_x 1
		.amdhsa_system_sgpr_workgroup_id_y 1
		.amdhsa_system_sgpr_workgroup_id_z 0
		.amdhsa_system_sgpr_workgroup_info 0
		.amdhsa_system_vgpr_workitem_id 1
		.amdhsa_next_free_vgpr 48
		.amdhsa_next_free_sgpr 51
		.amdhsa_reserve_vcc 1
		.amdhsa_float_round_mode_32 0
		.amdhsa_float_round_mode_16_64 0
		.amdhsa_float_denorm_mode_32 3
		.amdhsa_float_denorm_mode_16_64 3
		.amdhsa_dx10_clamp 1
		.amdhsa_ieee_mode 1
		.amdhsa_fp16_overflow 0
		.amdhsa_workgroup_processor_mode 1
		.amdhsa_memory_ordered 1
		.amdhsa_forward_progress 0
		.amdhsa_shared_vgpr_count 0
		.amdhsa_exception_fp_ieee_invalid_op 0
		.amdhsa_exception_fp_denorm_src 0
		.amdhsa_exception_fp_ieee_div_zero 0
		.amdhsa_exception_fp_ieee_overflow 0
		.amdhsa_exception_fp_ieee_underflow 0
		.amdhsa_exception_fp_ieee_inexact 0
		.amdhsa_exception_int_div_zero 0
	.end_amdhsa_kernel
	.section	.text._ZN9rocsparseL30bellmm_general_blockdim_kernelILi32ELi32EdldddEEv20rocsparse_operation_S1_20rocsparse_direction_T2_S3_NS_24const_host_device_scalarIT1_EES3_S3_PKS3_PKT3_PKT4_l16rocsparse_order_S6_PT5_lSF_21rocsparse_index_base_b,"axG",@progbits,_ZN9rocsparseL30bellmm_general_blockdim_kernelILi32ELi32EdldddEEv20rocsparse_operation_S1_20rocsparse_direction_T2_S3_NS_24const_host_device_scalarIT1_EES3_S3_PKS3_PKT3_PKT4_l16rocsparse_order_S6_PT5_lSF_21rocsparse_index_base_b,comdat
.Lfunc_end5:
	.size	_ZN9rocsparseL30bellmm_general_blockdim_kernelILi32ELi32EdldddEEv20rocsparse_operation_S1_20rocsparse_direction_T2_S3_NS_24const_host_device_scalarIT1_EES3_S3_PKS3_PKT3_PKT4_l16rocsparse_order_S6_PT5_lSF_21rocsparse_index_base_b, .Lfunc_end5-_ZN9rocsparseL30bellmm_general_blockdim_kernelILi32ELi32EdldddEEv20rocsparse_operation_S1_20rocsparse_direction_T2_S3_NS_24const_host_device_scalarIT1_EES3_S3_PKS3_PKT3_PKT4_l16rocsparse_order_S6_PT5_lSF_21rocsparse_index_base_b
                                        ; -- End function
	.section	.AMDGPU.csdata,"",@progbits
; Kernel info:
; codeLenInByte = 3196
; NumSgprs: 53
; NumVgprs: 48
; ScratchSize: 0
; MemoryBound: 0
; FloatMode: 240
; IeeeMode: 1
; LDSByteSize: 16384 bytes/workgroup (compile time only)
; SGPRBlocks: 6
; VGPRBlocks: 5
; NumSGPRsForWavesPerEU: 53
; NumVGPRsForWavesPerEU: 48
; Occupancy: 16
; WaveLimiterHint : 1
; COMPUTE_PGM_RSRC2:SCRATCH_EN: 0
; COMPUTE_PGM_RSRC2:USER_SGPR: 14
; COMPUTE_PGM_RSRC2:TRAP_HANDLER: 0
; COMPUTE_PGM_RSRC2:TGID_X_EN: 1
; COMPUTE_PGM_RSRC2:TGID_Y_EN: 1
; COMPUTE_PGM_RSRC2:TGID_Z_EN: 0
; COMPUTE_PGM_RSRC2:TIDIG_COMP_CNT: 1
	.section	.text._ZN9rocsparseL30bellmm_general_blockdim_kernelILi32ELi32E21rocsparse_complex_numIfEiS2_S2_S2_EEv20rocsparse_operation_S3_20rocsparse_direction_T2_S5_NS_24const_host_device_scalarIT1_EES5_S5_PKS5_PKT3_PKT4_l16rocsparse_order_S8_PT5_lSH_21rocsparse_index_base_b,"axG",@progbits,_ZN9rocsparseL30bellmm_general_blockdim_kernelILi32ELi32E21rocsparse_complex_numIfEiS2_S2_S2_EEv20rocsparse_operation_S3_20rocsparse_direction_T2_S5_NS_24const_host_device_scalarIT1_EES5_S5_PKS5_PKT3_PKT4_l16rocsparse_order_S8_PT5_lSH_21rocsparse_index_base_b,comdat
	.globl	_ZN9rocsparseL30bellmm_general_blockdim_kernelILi32ELi32E21rocsparse_complex_numIfEiS2_S2_S2_EEv20rocsparse_operation_S3_20rocsparse_direction_T2_S5_NS_24const_host_device_scalarIT1_EES5_S5_PKS5_PKT3_PKT4_l16rocsparse_order_S8_PT5_lSH_21rocsparse_index_base_b ; -- Begin function _ZN9rocsparseL30bellmm_general_blockdim_kernelILi32ELi32E21rocsparse_complex_numIfEiS2_S2_S2_EEv20rocsparse_operation_S3_20rocsparse_direction_T2_S5_NS_24const_host_device_scalarIT1_EES5_S5_PKS5_PKT3_PKT4_l16rocsparse_order_S8_PT5_lSH_21rocsparse_index_base_b
	.p2align	8
	.type	_ZN9rocsparseL30bellmm_general_blockdim_kernelILi32ELi32E21rocsparse_complex_numIfEiS2_S2_S2_EEv20rocsparse_operation_S3_20rocsparse_direction_T2_S5_NS_24const_host_device_scalarIT1_EES5_S5_PKS5_PKT3_PKT4_l16rocsparse_order_S8_PT5_lSH_21rocsparse_index_base_b,@function
_ZN9rocsparseL30bellmm_general_blockdim_kernelILi32ELi32E21rocsparse_complex_numIfEiS2_S2_S2_EEv20rocsparse_operation_S3_20rocsparse_direction_T2_S5_NS_24const_host_device_scalarIT1_EES5_S5_PKS5_PKT3_PKT4_l16rocsparse_order_S8_PT5_lSH_21rocsparse_index_base_b: ; @_ZN9rocsparseL30bellmm_general_blockdim_kernelILi32ELi32E21rocsparse_complex_numIfEiS2_S2_S2_EEv20rocsparse_operation_S3_20rocsparse_direction_T2_S5_NS_24const_host_device_scalarIT1_EES5_S5_PKS5_PKT3_PKT4_l16rocsparse_order_S8_PT5_lSH_21rocsparse_index_base_b
; %bb.0:
	s_clause 0x2
	s_load_b128 s[16:19], s[0:1], 0x68
	s_load_b64 s[4:5], s[0:1], 0x18
	s_load_b64 s[2:3], s[0:1], 0x50
	s_waitcnt lgkmcnt(0)
	s_bitcmp1_b32 s18, 0
	v_mov_b32_e32 v11, s4
	s_cselect_b32 s6, -1, 0
	s_delay_alu instid0(SALU_CYCLE_1)
	s_and_b32 vcc_lo, exec_lo, s6
	s_xor_b32 s6, s6, -1
	s_cbranch_vccz .LBB6_68
; %bb.1:
	v_cndmask_b32_e64 v1, 0, 1, s6
	v_mov_b32_e32 v12, s5
	s_and_not1_b32 vcc_lo, exec_lo, s6
	s_cbranch_vccz .LBB6_69
.LBB6_2:
	s_delay_alu instid0(VALU_DEP_2)
	v_cmp_ne_u32_e32 vcc_lo, 1, v1
	v_mov_b32_e32 v13, s2
	s_cbranch_vccz .LBB6_70
.LBB6_3:
	v_cmp_ne_u32_e32 vcc_lo, 1, v1
	v_mov_b32_e32 v14, s3
	s_cbranch_vccnz .LBB6_5
.LBB6_4:
	v_dual_mov_b32 v1, s2 :: v_dual_mov_b32 v2, s3
	flat_load_b32 v14, v[1:2] offset:4
.LBB6_5:
	s_waitcnt vmcnt(0) lgkmcnt(0)
	v_cmp_eq_f32_e32 vcc_lo, 0, v11
	v_cmp_eq_f32_e64 s2, 0, v12
	s_delay_alu instid0(VALU_DEP_1)
	s_and_b32 s4, vcc_lo, s2
	s_mov_b32 s2, -1
	s_and_saveexec_b32 s3, s4
; %bb.6:
	v_cmp_neq_f32_e32 vcc_lo, 1.0, v13
	v_cmp_neq_f32_e64 s2, 0, v14
	s_delay_alu instid0(VALU_DEP_1) | instskip(NEXT) | instid1(SALU_CYCLE_1)
	s_or_b32 s2, vcc_lo, s2
	s_or_not1_b32 s2, s2, exec_lo
; %bb.7:
	s_or_b32 exec_lo, exec_lo, s3
	s_and_saveexec_b32 s3, s2
	s_cbranch_execz .LBB6_67
; %bb.8:
	s_clause 0x1
	s_load_b128 s[20:23], s[0:1], 0x0
	s_load_b64 s[2:3], s[0:1], 0x20
	s_mov_b32 s12, 0
	s_waitcnt lgkmcnt(0)
	s_cmp_lt_i32 s14, s23
	s_cselect_b32 s28, -1, 0
	s_cmp_ge_i32 s14, s23
	s_cbranch_scc1 .LBB6_10
; %bb.9:
	s_abs_i32 s4, s3
	s_abs_i32 s7, s2
	v_cvt_f32_u32_e32 v1, s4
	s_sub_i32 s6, 0, s4
	s_xor_b32 s2, s2, s3
	s_delay_alu instid0(SALU_CYCLE_1) | instskip(NEXT) | instid1(VALU_DEP_1)
	s_ashr_i32 s2, s2, 31
	v_rcp_iflag_f32_e32 v1, v1
	s_waitcnt_depctr 0xfff
	v_mul_f32_e32 v1, 0x4f7ffffe, v1
	s_delay_alu instid0(VALU_DEP_1) | instskip(NEXT) | instid1(VALU_DEP_1)
	v_cvt_u32_f32_e32 v1, v1
	v_readfirstlane_b32 s5, v1
	s_delay_alu instid0(VALU_DEP_1) | instskip(NEXT) | instid1(SALU_CYCLE_1)
	s_mul_i32 s6, s6, s5
	s_mul_hi_u32 s6, s5, s6
	s_delay_alu instid0(SALU_CYCLE_1) | instskip(NEXT) | instid1(SALU_CYCLE_1)
	s_add_i32 s5, s5, s6
	s_mul_hi_u32 s5, s7, s5
	s_delay_alu instid0(SALU_CYCLE_1) | instskip(NEXT) | instid1(SALU_CYCLE_1)
	s_mul_i32 s6, s5, s4
	s_sub_i32 s6, s7, s6
	s_add_i32 s7, s5, 1
	s_sub_i32 s8, s6, s4
	s_cmp_ge_u32 s6, s4
	s_cselect_b32 s5, s7, s5
	s_cselect_b32 s6, s8, s6
	s_add_i32 s7, s5, 1
	s_cmp_ge_u32 s6, s4
	s_cselect_b32 s4, s7, s5
	s_delay_alu instid0(SALU_CYCLE_1) | instskip(NEXT) | instid1(SALU_CYCLE_1)
	s_xor_b32 s4, s4, s2
	s_sub_i32 s12, s4, s2
.LBB6_10:
	s_cmp_lt_i32 s3, 1
	s_cbranch_scc1 .LBB6_67
; %bb.11:
	s_clause 0x1
	s_load_b256 s[4:11], s[0:1], 0x28
	s_load_b32 s18, s[0:1], 0x48
	v_bfe_u32 v15, v0, 10, 10
	s_clause 0x1
	s_load_b128 s[24:27], s[0:1], 0x58
	s_load_b32 s0, s[0:1], 0x10
	s_cmp_gt_i32 s12, 0
	v_and_b32_e32 v16, 0x3ff, v0
	s_cselect_b32 s13, -1, 0
	v_lshl_add_u32 v1, s15, 5, v15
	s_cmpk_eq_i32 s21, 0x6f
	v_lshlrev_b32_e32 v0, 5, v15
	s_cselect_b32 s29, -1, 0
	v_lshlrev_b32_e32 v23, 3, v16
	v_ashrrev_i32_e32 v2, 31, v1
	v_lshl_add_u32 v24, v15, 8, 0x2000
	v_add_lshl_u32 v19, v0, v16, 3
	s_mul_i32 s2, s14, s3
	s_mov_b32 s15, 0
	v_lshlrev_b64 v[3:4], 3, v[1:2]
	s_delay_alu instid0(VALU_DEP_2)
	v_add_nc_u32_e32 v20, 0x2000, v19
	s_waitcnt lgkmcnt(0)
	v_mul_lo_u32 v7, v2, s10
	v_mul_lo_u32 v8, v1, s11
	v_mad_u64_u32 v[5:6], null, v1, s10, 0
	s_cmp_lg_u32 s18, 1
	v_add_co_u32 v17, vcc_lo, s8, v3
	s_cselect_b32 s30, -1, 0
	s_cmp_lg_u32 s22, 0
	v_add_co_ci_u32_e32 v18, vcc_lo, s9, v4, vcc_lo
	s_delay_alu instid0(VALU_DEP_3)
	v_add3_u32 v6, v6, v8, v7
	s_cselect_b32 s18, -1, 0
	s_cmpk_eq_i32 s21, 0x71
	v_mul_lo_u32 v0, v2, s26
	s_cselect_b32 s1, -1, 0
	v_lshlrev_b64 v[5:6], 3, v[5:6]
	s_cmpk_lg_i32 s21, 0x71
	v_mul_lo_u32 v7, v1, s27
	s_cselect_b32 s19, -1, 0
	s_cmpk_lg_i32 s20, 0x71
	v_mad_u64_u32 v[3:4], null, v1, s26, 0
	s_cselect_b32 s21, -1, 0
	v_add_co_u32 v21, vcc_lo, s8, v5
	s_and_b32 s20, s21, s1
	v_add_co_ci_u32_e32 v22, vcc_lo, s9, v6, vcc_lo
	v_mov_b32_e32 v6, 0
	v_cmp_gt_i32_e64 s0, s0, v1
	s_or_b32 s19, s21, s19
	s_xor_b32 s20, s20, -1
	s_or_b32 s21, s21, s1
	v_cmp_neq_f32_e32 vcc_lo, 0, v13
	v_cmp_neq_f32_e64 s1, 0, v14
	s_cmp_lg_u32 s16, 1
	v_add3_u32 v4, v4, v7, v0
	s_cselect_b32 s8, -1, 0
	s_xor_b32 s22, s29, s30
	s_and_b32 s9, s28, s0
	s_or_b32 s16, vcc_lo, s1
	s_xor_b32 s22, s22, -1
	s_branch .LBB6_13
.LBB6_12:                               ;   in Loop: Header=BB6_13 Depth=1
	s_or_b32 exec_lo, exec_lo, s1
	s_add_i32 s15, s15, 32
	s_delay_alu instid0(SALU_CYCLE_1)
	s_cmp_lt_i32 s15, s3
	s_cbranch_scc0 .LBB6_67
.LBB6_13:                               ; =>This Loop Header: Depth=1
                                        ;     Child Loop BB6_16 Depth 2
                                        ;       Child Loop BB6_19 Depth 3
                                        ;         Child Loop BB6_50 Depth 4
                                        ;         Child Loop BB6_40 Depth 4
	;; [unrolled: 1-line block ×4, first 2 shown]
	v_dual_mov_b32 v25, v6 :: v_dual_add_nc_u32 v0, s15, v16
	v_mov_b32_e32 v26, v6
	s_and_not1_b32 vcc_lo, exec_lo, s13
	s_delay_alu instid0(VALU_DEP_2)
	v_cmp_gt_i32_e64 s1, s3, v0
	s_cbranch_vccnz .LBB6_58
; %bb.14:                               ;   in Loop: Header=BB6_13 Depth=1
	v_dual_mov_b32 v26, 0 :: v_dual_mov_b32 v25, 0
	s_mov_b32 s28, 0
	s_branch .LBB6_16
.LBB6_15:                               ;   in Loop: Header=BB6_16 Depth=2
	s_add_i32 s28, s28, 1
	s_delay_alu instid0(SALU_CYCLE_1)
	s_cmp_eq_u32 s28, s12
	s_cbranch_scc1 .LBB6_58
.LBB6_16:                               ;   Parent Loop BB6_13 Depth=1
                                        ; =>  This Loop Header: Depth=2
                                        ;       Child Loop BB6_19 Depth 3
                                        ;         Child Loop BB6_50 Depth 4
                                        ;         Child Loop BB6_40 Depth 4
                                        ;         Child Loop BB6_53 Depth 4
                                        ;         Child Loop BB6_56 Depth 4
	s_mul_i32 s29, s28, s23
	s_mov_b32 s33, 0
	s_add_i32 s30, s29, s14
	s_delay_alu instid0(SALU_CYCLE_1)
	s_ashr_i32 s31, s30, 31
	s_mul_i32 s29, s30, s3
	s_lshl_b64 s[34:35], s[30:31], 2
	v_add_nc_u32_e32 v5, s29, v0
	s_add_u32 s34, s4, s34
	s_addc_u32 s35, s5, s35
	s_load_b32 s31, s[34:35], 0x0
	s_delay_alu instid0(VALU_DEP_1) | instskip(SKIP_2) | instid1(SALU_CYCLE_1)
	v_mul_lo_u32 v27, v5, s3
	s_waitcnt lgkmcnt(0)
	s_sub_i32 s31, s31, s17
	s_cmp_gt_i32 s31, -1
	s_mul_i32 s31, s31, s3
	s_cselect_b32 s30, -1, 0
	s_branch .LBB6_19
.LBB6_17:                               ;   in Loop: Header=BB6_19 Depth=3
	s_delay_alu instid0(VALU_DEP_1)
	v_dual_mov_b32 v25, v5 :: v_dual_mov_b32 v26, v7
.LBB6_18:                               ;   in Loop: Header=BB6_19 Depth=3
	s_add_i32 s33, s33, 32
	s_delay_alu instid0(SALU_CYCLE_1)
	s_cmp_ge_i32 s33, s3
	s_barrier
	buffer_gl0_inv
	s_cbranch_scc1 .LBB6_15
.LBB6_19:                               ;   Parent Loop BB6_13 Depth=1
                                        ;     Parent Loop BB6_16 Depth=2
                                        ; =>    This Loop Header: Depth=3
                                        ;         Child Loop BB6_50 Depth 4
                                        ;         Child Loop BB6_40 Depth 4
	;; [unrolled: 1-line block ×4, first 2 shown]
	v_add_nc_u32_e32 v5, s33, v16
	s_delay_alu instid0(VALU_DEP_1)
	v_cmp_gt_i32_e32 vcc_lo, s3, v5
	s_and_b32 s34, s0, vcc_lo
	s_and_b32 vcc_lo, exec_lo, s22
	s_and_b32 s36, s34, s30
	s_cbranch_vccz .LBB6_23
; %bb.20:                               ;   in Loop: Header=BB6_19 Depth=3
	s_mov_b32 s35, 0
	s_mov_b32 s34, 0
                                        ; implicit-def: $vgpr7_vgpr8
	s_and_saveexec_b32 s37, s36
	s_delay_alu instid0(SALU_CYCLE_1)
	s_xor_b32 s37, exec_lo, s37
; %bb.21:                               ;   in Loop: Header=BB6_19 Depth=3
	v_add_nc_u32_e32 v28, s31, v5
	s_mov_b32 s34, exec_lo
	s_delay_alu instid0(VALU_DEP_1) | instskip(NEXT) | instid1(VALU_DEP_1)
	v_mad_u64_u32 v[7:8], null, v28, s10, 0
	v_mad_u64_u32 v[9:10], null, v28, s11, v[8:9]
	s_delay_alu instid0(VALU_DEP_1) | instskip(NEXT) | instid1(VALU_DEP_1)
	v_mov_b32_e32 v8, v9
	v_lshlrev_b64 v[7:8], 3, v[7:8]
	s_delay_alu instid0(VALU_DEP_1) | instskip(NEXT) | instid1(VALU_DEP_2)
	v_add_co_u32 v7, vcc_lo, v17, v7
	v_add_co_ci_u32_e32 v8, vcc_lo, v18, v8, vcc_lo
; %bb.22:                               ;   in Loop: Header=BB6_19 Depth=3
	s_or_b32 exec_lo, exec_lo, s37
	s_delay_alu instid0(SALU_CYCLE_1)
	s_and_b32 vcc_lo, exec_lo, s35
	s_cbranch_vccnz .LBB6_24
	s_branch .LBB6_27
.LBB6_23:                               ;   in Loop: Header=BB6_19 Depth=3
	s_mov_b32 s35, -1
	s_mov_b32 s34, 0
                                        ; implicit-def: $vgpr7_vgpr8
	s_cbranch_execz .LBB6_27
.LBB6_24:                               ;   in Loop: Header=BB6_19 Depth=3
                                        ; implicit-def: $vgpr7_vgpr8
	s_and_saveexec_b32 s35, s36
; %bb.25:                               ;   in Loop: Header=BB6_19 Depth=3
	v_add_nc_u32_e32 v5, s31, v5
	s_or_b32 s34, s34, exec_lo
	s_delay_alu instid0(VALU_DEP_1) | instskip(NEXT) | instid1(VALU_DEP_1)
	v_lshlrev_b64 v[7:8], 3, v[5:6]
	v_add_co_u32 v7, vcc_lo, v21, v7
	s_delay_alu instid0(VALU_DEP_2)
	v_add_co_ci_u32_e32 v8, vcc_lo, v22, v8, vcc_lo
; %bb.26:                               ;   in Loop: Header=BB6_19 Depth=3
	s_or_b32 exec_lo, exec_lo, s35
	s_mov_b32 s35, 0
.LBB6_27:                               ;   in Loop: Header=BB6_19 Depth=3
	s_delay_alu instid0(SALU_CYCLE_1)
	v_dual_mov_b32 v9, s35 :: v_dual_mov_b32 v10, s35
	s_and_saveexec_b32 s35, s34
	s_cbranch_execz .LBB6_29
; %bb.28:                               ;   in Loop: Header=BB6_19 Depth=3
	global_load_b64 v[9:10], v[7:8], off
.LBB6_29:                               ;   in Loop: Header=BB6_19 Depth=3
	s_or_b32 exec_lo, exec_lo, s35
	v_add_nc_u32_e32 v5, s33, v15
	s_waitcnt vmcnt(0)
	ds_store_b64 v20, v[9:10]
	v_cmp_gt_i32_e32 vcc_lo, s3, v5
	s_and_b32 s34, s1, vcc_lo
	s_and_b32 vcc_lo, exec_lo, s18
	s_and_b32 s36, s34, s30
	s_cbranch_vccz .LBB6_42
; %bb.30:                               ;   in Loop: Header=BB6_19 Depth=3
	s_mov_b32 s35, 0
	s_mov_b32 s34, 0
                                        ; implicit-def: $vgpr7
	s_and_saveexec_b32 s37, s36
	s_delay_alu instid0(SALU_CYCLE_1)
	s_xor_b32 s37, exec_lo, s37
; %bb.31:                               ;   in Loop: Header=BB6_19 Depth=3
	v_add_nc_u32_e32 v9, s29, v5
	s_mov_b32 s34, exec_lo
	s_delay_alu instid0(VALU_DEP_1)
	v_mad_u64_u32 v[7:8], null, v9, s3, v[0:1]
; %bb.32:                               ;   in Loop: Header=BB6_19 Depth=3
	s_or_b32 exec_lo, exec_lo, s37
	s_delay_alu instid0(SALU_CYCLE_1)
	s_and_b32 vcc_lo, exec_lo, s35
	s_cbranch_vccnz .LBB6_43
.LBB6_33:                               ;   in Loop: Header=BB6_19 Depth=3
	v_dual_mov_b32 v8, s35 :: v_dual_mov_b32 v9, s35
	s_and_saveexec_b32 s35, s34
	s_cbranch_execz .LBB6_35
.LBB6_34:                               ;   in Loop: Header=BB6_19 Depth=3
	s_delay_alu instid0(VALU_DEP_2) | instskip(NEXT) | instid1(VALU_DEP_1)
	v_ashrrev_i32_e32 v8, 31, v7
	v_lshlrev_b64 v[7:8], 3, v[7:8]
	s_delay_alu instid0(VALU_DEP_1) | instskip(NEXT) | instid1(VALU_DEP_2)
	v_add_co_u32 v7, vcc_lo, s6, v7
	v_add_co_ci_u32_e32 v8, vcc_lo, s7, v8, vcc_lo
	global_load_b64 v[8:9], v[7:8], off
.LBB6_35:                               ;   in Loop: Header=BB6_19 Depth=3
	s_or_b32 exec_lo, exec_lo, s35
	s_delay_alu instid0(SALU_CYCLE_1)
	s_and_not1_b32 vcc_lo, exec_lo, s30
	s_waitcnt vmcnt(0)
	ds_store_b64 v19, v[8:9]
	s_waitcnt lgkmcnt(0)
	s_waitcnt_vscnt null, 0x0
	s_barrier
	buffer_gl0_inv
	s_cbranch_vccnz .LBB6_18
; %bb.36:                               ;   in Loop: Header=BB6_19 Depth=3
	s_and_b32 vcc_lo, exec_lo, s19
	s_cbranch_vccz .LBB6_46
; %bb.37:                               ;   in Loop: Header=BB6_19 Depth=3
	s_and_b32 vcc_lo, exec_lo, s20
	s_cbranch_vccz .LBB6_47
; %bb.38:                               ;   in Loop: Header=BB6_19 Depth=3
	s_and_not1_b32 vcc_lo, exec_lo, s21
	s_cbranch_vccnz .LBB6_48
; %bb.39:                               ;   in Loop: Header=BB6_19 Depth=3
	v_dual_mov_b32 v8, v23 :: v_dual_mov_b32 v7, v26
	v_mov_b32_e32 v5, v25
	s_mov_b32 s34, 0
	s_set_inst_prefetch_distance 0x1
	.p2align	6
.LBB6_40:                               ;   Parent Loop BB6_13 Depth=1
                                        ;     Parent Loop BB6_16 Depth=2
                                        ;       Parent Loop BB6_19 Depth=3
                                        ; =>      This Inner Loop Header: Depth=4
	v_add_nc_u32_e32 v9, s34, v24
	s_add_i32 s34, s34, 32
	ds_load_2addr_b64 v[28:31], v8 offset1:32
	ds_load_b128 v[32:35], v9
	ds_load_2addr_b64 v[36:39], v8 offset0:64 offset1:96
	ds_load_b128 v[40:43], v9 offset:16
	s_cmpk_lg_i32 s34, 0x100
	v_add_nc_u32_e32 v8, 0x400, v8
	s_waitcnt lgkmcnt(2)
	v_fmac_f32_e32 v5, v28, v32
	v_fmac_f32_e32 v7, v29, v32
	s_delay_alu instid0(VALU_DEP_2) | instskip(NEXT) | instid1(VALU_DEP_2)
	v_fma_f32 v5, -v29, v33, v5
	v_fmac_f32_e32 v7, v28, v33
	s_delay_alu instid0(VALU_DEP_2) | instskip(NEXT) | instid1(VALU_DEP_2)
	v_fmac_f32_e32 v5, v30, v34
	v_fmac_f32_e32 v7, v31, v34
	s_delay_alu instid0(VALU_DEP_2) | instskip(NEXT) | instid1(VALU_DEP_2)
	v_fma_f32 v5, -v31, v35, v5
	v_fmac_f32_e32 v7, v30, v35
	s_waitcnt lgkmcnt(0)
	s_delay_alu instid0(VALU_DEP_2) | instskip(NEXT) | instid1(VALU_DEP_2)
	v_fmac_f32_e32 v5, v36, v40
	v_fmac_f32_e32 v7, v37, v40
	s_delay_alu instid0(VALU_DEP_2) | instskip(NEXT) | instid1(VALU_DEP_2)
	v_fma_f32 v5, -v37, v41, v5
	v_fmac_f32_e32 v7, v36, v41
	s_delay_alu instid0(VALU_DEP_2) | instskip(NEXT) | instid1(VALU_DEP_2)
	v_fmac_f32_e32 v5, v38, v42
	v_fmac_f32_e32 v7, v39, v42
	s_delay_alu instid0(VALU_DEP_2) | instskip(NEXT) | instid1(VALU_DEP_2)
	v_fma_f32 v5, -v39, v43, v5
	v_fmac_f32_e32 v7, v38, v43
	s_cbranch_scc1 .LBB6_40
; %bb.41:                               ;   in Loop: Header=BB6_19 Depth=3
	s_set_inst_prefetch_distance 0x2
	s_branch .LBB6_51
.LBB6_42:                               ;   in Loop: Header=BB6_19 Depth=3
	s_mov_b32 s35, -1
	s_mov_b32 s34, 0
                                        ; implicit-def: $vgpr7
	s_cbranch_execz .LBB6_33
.LBB6_43:                               ;   in Loop: Header=BB6_19 Depth=3
                                        ; implicit-def: $vgpr7
	s_and_saveexec_b32 s35, s36
; %bb.44:                               ;   in Loop: Header=BB6_19 Depth=3
	v_add_nc_u32_e32 v7, v5, v27
	s_or_b32 s34, s34, exec_lo
; %bb.45:                               ;   in Loop: Header=BB6_19 Depth=3
	s_or_b32 exec_lo, exec_lo, s35
	s_mov_b32 s35, 0
	s_delay_alu instid0(SALU_CYCLE_1)
	v_dual_mov_b32 v8, s35 :: v_dual_mov_b32 v9, s35
	s_and_saveexec_b32 s35, s34
	s_cbranch_execnz .LBB6_34
	s_branch .LBB6_35
.LBB6_46:                               ;   in Loop: Header=BB6_19 Depth=3
                                        ; implicit-def: $vgpr7
                                        ; implicit-def: $vgpr5
	s_branch .LBB6_55
.LBB6_47:                               ;   in Loop: Header=BB6_19 Depth=3
                                        ; implicit-def: $vgpr7
                                        ; implicit-def: $vgpr5
	s_branch .LBB6_52
.LBB6_48:                               ;   in Loop: Header=BB6_19 Depth=3
                                        ; implicit-def: $vgpr7
                                        ; implicit-def: $vgpr5
	s_cbranch_execz .LBB6_51
; %bb.49:                               ;   in Loop: Header=BB6_19 Depth=3
	v_dual_mov_b32 v8, v23 :: v_dual_mov_b32 v7, v26
	v_mov_b32_e32 v5, v25
	s_mov_b32 s34, 0
	s_set_inst_prefetch_distance 0x1
	.p2align	6
.LBB6_50:                               ;   Parent Loop BB6_13 Depth=1
                                        ;     Parent Loop BB6_16 Depth=2
                                        ;       Parent Loop BB6_19 Depth=3
                                        ; =>      This Inner Loop Header: Depth=4
	v_add_nc_u32_e32 v9, s34, v24
	s_add_i32 s34, s34, 32
	ds_load_2addr_b64 v[28:31], v8 offset1:32
	ds_load_b128 v[32:35], v9
	ds_load_2addr_b64 v[36:39], v8 offset0:64 offset1:96
	ds_load_b128 v[40:43], v9 offset:16
	s_cmpk_eq_i32 s34, 0x100
	v_add_nc_u32_e32 v8, 0x400, v8
	s_waitcnt lgkmcnt(2)
	v_fmac_f32_e32 v5, v28, v32
	v_fma_f32 v7, -v29, v32, v7
	s_delay_alu instid0(VALU_DEP_2) | instskip(NEXT) | instid1(VALU_DEP_2)
	v_fmac_f32_e32 v5, v29, v33
	v_fmac_f32_e32 v7, v28, v33
	s_delay_alu instid0(VALU_DEP_2) | instskip(NEXT) | instid1(VALU_DEP_2)
	v_fmac_f32_e32 v5, v30, v34
	v_fma_f32 v7, -v31, v34, v7
	s_delay_alu instid0(VALU_DEP_2) | instskip(NEXT) | instid1(VALU_DEP_2)
	v_fmac_f32_e32 v5, v31, v35
	v_fmac_f32_e32 v7, v30, v35
	s_waitcnt lgkmcnt(0)
	s_delay_alu instid0(VALU_DEP_2) | instskip(NEXT) | instid1(VALU_DEP_2)
	v_fmac_f32_e32 v5, v36, v40
	v_fma_f32 v7, -v37, v40, v7
	s_delay_alu instid0(VALU_DEP_2) | instskip(NEXT) | instid1(VALU_DEP_2)
	v_fmac_f32_e32 v5, v37, v41
	v_fmac_f32_e32 v7, v36, v41
	s_delay_alu instid0(VALU_DEP_2) | instskip(NEXT) | instid1(VALU_DEP_2)
	v_fmac_f32_e32 v5, v38, v42
	v_fma_f32 v7, -v39, v42, v7
	s_delay_alu instid0(VALU_DEP_2) | instskip(NEXT) | instid1(VALU_DEP_2)
	v_fmac_f32_e32 v5, v39, v43
	v_fmac_f32_e32 v7, v38, v43
	s_cbranch_scc0 .LBB6_50
.LBB6_51:                               ;   in Loop: Header=BB6_19 Depth=3
	s_set_inst_prefetch_distance 0x2
	s_cbranch_execnz .LBB6_54
.LBB6_52:                               ;   in Loop: Header=BB6_19 Depth=3
	v_dual_mov_b32 v8, v23 :: v_dual_mov_b32 v7, v26
	v_mov_b32_e32 v5, v25
	s_mov_b32 s34, 0
	s_set_inst_prefetch_distance 0x1
	.p2align	6
.LBB6_53:                               ;   Parent Loop BB6_13 Depth=1
                                        ;     Parent Loop BB6_16 Depth=2
                                        ;       Parent Loop BB6_19 Depth=3
                                        ; =>      This Inner Loop Header: Depth=4
	v_add_nc_u32_e32 v9, s34, v24
	s_add_i32 s34, s34, 32
	ds_load_2addr_b64 v[28:31], v8 offset1:32
	ds_load_b128 v[32:35], v9
	ds_load_2addr_b64 v[36:39], v8 offset0:64 offset1:96
	ds_load_b128 v[40:43], v9 offset:16
	s_cmpk_eq_i32 s34, 0x100
	v_add_nc_u32_e32 v8, 0x400, v8
	s_waitcnt lgkmcnt(2)
	v_fmac_f32_e32 v5, v28, v32
	v_fmac_f32_e32 v7, v29, v32
	s_delay_alu instid0(VALU_DEP_2) | instskip(NEXT) | instid1(VALU_DEP_2)
	v_fmac_f32_e32 v5, v29, v33
	v_fma_f32 v7, v28, -v33, v7
	s_delay_alu instid0(VALU_DEP_2) | instskip(NEXT) | instid1(VALU_DEP_2)
	v_fmac_f32_e32 v5, v30, v34
	v_fmac_f32_e32 v7, v31, v34
	s_delay_alu instid0(VALU_DEP_2) | instskip(NEXT) | instid1(VALU_DEP_2)
	v_fmac_f32_e32 v5, v31, v35
	v_fma_f32 v7, v30, -v35, v7
	s_waitcnt lgkmcnt(0)
	s_delay_alu instid0(VALU_DEP_2) | instskip(NEXT) | instid1(VALU_DEP_2)
	v_fmac_f32_e32 v5, v36, v40
	v_fmac_f32_e32 v7, v37, v40
	s_delay_alu instid0(VALU_DEP_2) | instskip(NEXT) | instid1(VALU_DEP_2)
	v_fmac_f32_e32 v5, v37, v41
	v_fma_f32 v7, v36, -v41, v7
	s_delay_alu instid0(VALU_DEP_2) | instskip(NEXT) | instid1(VALU_DEP_2)
	v_fmac_f32_e32 v5, v38, v42
	v_fmac_f32_e32 v7, v39, v42
	s_delay_alu instid0(VALU_DEP_2) | instskip(NEXT) | instid1(VALU_DEP_2)
	v_fmac_f32_e32 v5, v39, v43
	v_fma_f32 v7, v38, -v43, v7
	s_cbranch_scc0 .LBB6_53
.LBB6_54:                               ;   in Loop: Header=BB6_19 Depth=3
	s_set_inst_prefetch_distance 0x2
	s_cbranch_execnz .LBB6_17
.LBB6_55:                               ;   in Loop: Header=BB6_19 Depth=3
	v_mov_b32_e32 v5, v23
	s_mov_b32 s34, 0
	s_set_inst_prefetch_distance 0x1
	.p2align	6
.LBB6_56:                               ;   Parent Loop BB6_13 Depth=1
                                        ;     Parent Loop BB6_16 Depth=2
                                        ;       Parent Loop BB6_19 Depth=3
                                        ; =>      This Inner Loop Header: Depth=4
	v_add_nc_u32_e32 v36, s34, v24
	s_add_i32 s34, s34, 32
	ds_load_2addr_b64 v[7:10], v5 offset1:32
	ds_load_b128 v[28:31], v36
	ds_load_2addr_b64 v[32:35], v5 offset0:64 offset1:96
	ds_load_b128 v[36:39], v36 offset:16
	s_cmpk_eq_i32 s34, 0x100
	v_add_nc_u32_e32 v5, 0x400, v5
	s_waitcnt lgkmcnt(2)
	v_fmac_f32_e32 v25, v7, v28
	v_fma_f32 v26, -v8, v28, v26
	s_delay_alu instid0(VALU_DEP_2) | instskip(NEXT) | instid1(VALU_DEP_2)
	v_fma_f32 v8, v8, -v29, v25
	v_fma_f32 v7, v7, -v29, v26
	s_delay_alu instid0(VALU_DEP_2) | instskip(NEXT) | instid1(VALU_DEP_2)
	v_fmac_f32_e32 v8, v9, v30
	v_fma_f32 v7, -v10, v30, v7
	s_delay_alu instid0(VALU_DEP_2) | instskip(NEXT) | instid1(VALU_DEP_2)
	v_fma_f32 v8, v10, -v31, v8
	v_fma_f32 v7, v9, -v31, v7
	s_waitcnt lgkmcnt(0)
	s_delay_alu instid0(VALU_DEP_2) | instskip(NEXT) | instid1(VALU_DEP_2)
	v_fmac_f32_e32 v8, v32, v36
	v_fma_f32 v7, -v33, v36, v7
	s_delay_alu instid0(VALU_DEP_2) | instskip(NEXT) | instid1(VALU_DEP_2)
	v_fma_f32 v8, v33, -v37, v8
	v_fma_f32 v7, v32, -v37, v7
	s_delay_alu instid0(VALU_DEP_2) | instskip(NEXT) | instid1(VALU_DEP_2)
	v_fmac_f32_e32 v8, v34, v38
	v_fma_f32 v7, -v35, v38, v7
	s_delay_alu instid0(VALU_DEP_2) | instskip(NEXT) | instid1(VALU_DEP_2)
	v_fma_f32 v25, v35, -v39, v8
	v_fma_f32 v26, v34, -v39, v7
	s_cbranch_scc0 .LBB6_56
; %bb.57:                               ;   in Loop: Header=BB6_19 Depth=3
	s_set_inst_prefetch_distance 0x2
	s_delay_alu instid0(VALU_DEP_1)
	v_mov_b32_e32 v7, v26
	v_mov_b32_e32 v5, v25
	s_branch .LBB6_17
.LBB6_58:                               ;   in Loop: Header=BB6_13 Depth=1
	v_add_nc_u32_e32 v5, s2, v0
	s_and_b32 vcc_lo, exec_lo, s8
	s_delay_alu instid0(VALU_DEP_1)
	v_ashrrev_i32_e32 v9, 31, v5
	s_cbranch_vccz .LBB6_60
; %bb.59:                               ;   in Loop: Header=BB6_13 Depth=1
	v_mad_u64_u32 v[7:8], null, v5, s26, v[1:2]
	v_mul_lo_u32 v10, v5, s27
	s_delay_alu instid0(VALU_DEP_3) | instskip(NEXT) | instid1(VALU_DEP_1)
	v_mul_lo_u32 v27, v9, s26
	v_add3_u32 v8, v27, v8, v10
	s_cbranch_execz .LBB6_61
	s_branch .LBB6_62
.LBB6_60:                               ;   in Loop: Header=BB6_13 Depth=1
                                        ; implicit-def: $vgpr7_vgpr8
.LBB6_61:                               ;   in Loop: Header=BB6_13 Depth=1
	v_add_co_u32 v7, vcc_lo, v3, v5
	s_delay_alu instid0(VALU_DEP_2)
	v_add_co_ci_u32_e32 v8, vcc_lo, v4, v9, vcc_lo
.LBB6_62:                               ;   in Loop: Header=BB6_13 Depth=1
	v_cmp_gt_i32_e32 vcc_lo, s3, v0
	s_and_b32 s28, s9, vcc_lo
	s_delay_alu instid0(SALU_CYCLE_1)
	s_and_saveexec_b32 s1, s28
	s_cbranch_execz .LBB6_12
; %bb.63:                               ;   in Loop: Header=BB6_13 Depth=1
	s_and_saveexec_b32 s28, s16
	s_delay_alu instid0(SALU_CYCLE_1)
	s_xor_b32 s28, exec_lo, s28
	s_cbranch_execz .LBB6_65
; %bb.64:                               ;   in Loop: Header=BB6_13 Depth=1
	v_lshlrev_b64 v[7:8], 3, v[7:8]
	v_mul_f32_e64 v0, v26, -v12
	v_mul_f32_e32 v26, v26, v11
	s_delay_alu instid0(VALU_DEP_2) | instskip(NEXT) | instid1(VALU_DEP_4)
	v_fmac_f32_e32 v0, v11, v25
	v_add_co_u32 v7, vcc_lo, s24, v7
	v_add_co_ci_u32_e32 v8, vcc_lo, s25, v8, vcc_lo
	s_delay_alu instid0(VALU_DEP_4) | instskip(SKIP_4) | instid1(VALU_DEP_2)
	v_fmac_f32_e32 v26, v12, v25
	global_load_b64 v[9:10], v[7:8], off
	s_waitcnt vmcnt(0)
	v_fmac_f32_e32 v0, v13, v9
	v_fmac_f32_e32 v26, v14, v9
	v_fma_f32 v25, -v14, v10, v0
	s_delay_alu instid0(VALU_DEP_2)
	v_fmac_f32_e32 v26, v13, v10
	global_store_b64 v[7:8], v[25:26], off
                                        ; implicit-def: $vgpr26
                                        ; implicit-def: $vgpr25
                                        ; implicit-def: $vgpr7_vgpr8
.LBB6_65:                               ;   in Loop: Header=BB6_13 Depth=1
	s_and_not1_saveexec_b32 s28, s28
	s_cbranch_execz .LBB6_12
; %bb.66:                               ;   in Loop: Header=BB6_13 Depth=1
	v_lshlrev_b64 v[7:8], 3, v[7:8]
	v_mul_f32_e64 v9, v26, -v12
	s_delay_alu instid0(VALU_DEP_1) | instskip(NEXT) | instid1(VALU_DEP_3)
	v_dual_mul_f32 v10, v26, v11 :: v_dual_fmac_f32 v9, v11, v25
	v_add_co_u32 v7, vcc_lo, s24, v7
	s_delay_alu instid0(VALU_DEP_2)
	v_fmac_f32_e32 v10, v12, v25
	v_add_co_ci_u32_e32 v8, vcc_lo, s25, v8, vcc_lo
	global_store_b64 v[7:8], v[9:10], off
	s_branch .LBB6_12
.LBB6_67:
	s_nop 0
	s_sendmsg sendmsg(MSG_DEALLOC_VGPRS)
	s_endpgm
.LBB6_68:
	v_dual_mov_b32 v1, s4 :: v_dual_mov_b32 v2, s5
	flat_load_b32 v11, v[1:2]
	v_cndmask_b32_e64 v1, 0, 1, s6
	v_mov_b32_e32 v12, s5
	s_and_not1_b32 vcc_lo, exec_lo, s6
	s_cbranch_vccnz .LBB6_2
.LBB6_69:
	v_dual_mov_b32 v2, s4 :: v_dual_mov_b32 v3, s5
	flat_load_b32 v12, v[2:3] offset:4
	v_cmp_ne_u32_e32 vcc_lo, 1, v1
	v_mov_b32_e32 v13, s2
	s_cbranch_vccnz .LBB6_3
.LBB6_70:
	v_dual_mov_b32 v2, s2 :: v_dual_mov_b32 v3, s3
	flat_load_b32 v13, v[2:3]
	v_cmp_ne_u32_e32 vcc_lo, 1, v1
	v_mov_b32_e32 v14, s3
	s_cbranch_vccz .LBB6_4
	s_branch .LBB6_5
	.section	.rodata,"a",@progbits
	.p2align	6, 0x0
	.amdhsa_kernel _ZN9rocsparseL30bellmm_general_blockdim_kernelILi32ELi32E21rocsparse_complex_numIfEiS2_S2_S2_EEv20rocsparse_operation_S3_20rocsparse_direction_T2_S5_NS_24const_host_device_scalarIT1_EES5_S5_PKS5_PKT3_PKT4_l16rocsparse_order_S8_PT5_lSH_21rocsparse_index_base_b
		.amdhsa_group_segment_fixed_size 16384
		.amdhsa_private_segment_fixed_size 0
		.amdhsa_kernarg_size 116
		.amdhsa_user_sgpr_count 14
		.amdhsa_user_sgpr_dispatch_ptr 0
		.amdhsa_user_sgpr_queue_ptr 0
		.amdhsa_user_sgpr_kernarg_segment_ptr 1
		.amdhsa_user_sgpr_dispatch_id 0
		.amdhsa_user_sgpr_private_segment_size 0
		.amdhsa_wavefront_size32 1
		.amdhsa_uses_dynamic_stack 0
		.amdhsa_enable_private_segment 0
		.amdhsa_system_sgpr_workgroup_id_x 1
		.amdhsa_system_sgpr_workgroup_id_y 1
		.amdhsa_system_sgpr_workgroup_id_z 0
		.amdhsa_system_sgpr_workgroup_info 0
		.amdhsa_system_vgpr_workitem_id 1
		.amdhsa_next_free_vgpr 44
		.amdhsa_next_free_sgpr 38
		.amdhsa_reserve_vcc 1
		.amdhsa_float_round_mode_32 0
		.amdhsa_float_round_mode_16_64 0
		.amdhsa_float_denorm_mode_32 3
		.amdhsa_float_denorm_mode_16_64 3
		.amdhsa_dx10_clamp 1
		.amdhsa_ieee_mode 1
		.amdhsa_fp16_overflow 0
		.amdhsa_workgroup_processor_mode 1
		.amdhsa_memory_ordered 1
		.amdhsa_forward_progress 0
		.amdhsa_shared_vgpr_count 0
		.amdhsa_exception_fp_ieee_invalid_op 0
		.amdhsa_exception_fp_denorm_src 0
		.amdhsa_exception_fp_ieee_div_zero 0
		.amdhsa_exception_fp_ieee_overflow 0
		.amdhsa_exception_fp_ieee_underflow 0
		.amdhsa_exception_fp_ieee_inexact 0
		.amdhsa_exception_int_div_zero 0
	.end_amdhsa_kernel
	.section	.text._ZN9rocsparseL30bellmm_general_blockdim_kernelILi32ELi32E21rocsparse_complex_numIfEiS2_S2_S2_EEv20rocsparse_operation_S3_20rocsparse_direction_T2_S5_NS_24const_host_device_scalarIT1_EES5_S5_PKS5_PKT3_PKT4_l16rocsparse_order_S8_PT5_lSH_21rocsparse_index_base_b,"axG",@progbits,_ZN9rocsparseL30bellmm_general_blockdim_kernelILi32ELi32E21rocsparse_complex_numIfEiS2_S2_S2_EEv20rocsparse_operation_S3_20rocsparse_direction_T2_S5_NS_24const_host_device_scalarIT1_EES5_S5_PKS5_PKT3_PKT4_l16rocsparse_order_S8_PT5_lSH_21rocsparse_index_base_b,comdat
.Lfunc_end6:
	.size	_ZN9rocsparseL30bellmm_general_blockdim_kernelILi32ELi32E21rocsparse_complex_numIfEiS2_S2_S2_EEv20rocsparse_operation_S3_20rocsparse_direction_T2_S5_NS_24const_host_device_scalarIT1_EES5_S5_PKS5_PKT3_PKT4_l16rocsparse_order_S8_PT5_lSH_21rocsparse_index_base_b, .Lfunc_end6-_ZN9rocsparseL30bellmm_general_blockdim_kernelILi32ELi32E21rocsparse_complex_numIfEiS2_S2_S2_EEv20rocsparse_operation_S3_20rocsparse_direction_T2_S5_NS_24const_host_device_scalarIT1_EES5_S5_PKS5_PKT3_PKT4_l16rocsparse_order_S8_PT5_lSH_21rocsparse_index_base_b
                                        ; -- End function
	.section	.AMDGPU.csdata,"",@progbits
; Kernel info:
; codeLenInByte = 2668
; NumSgprs: 40
; NumVgprs: 44
; ScratchSize: 0
; MemoryBound: 0
; FloatMode: 240
; IeeeMode: 1
; LDSByteSize: 16384 bytes/workgroup (compile time only)
; SGPRBlocks: 4
; VGPRBlocks: 5
; NumSGPRsForWavesPerEU: 40
; NumVGPRsForWavesPerEU: 44
; Occupancy: 16
; WaveLimiterHint : 1
; COMPUTE_PGM_RSRC2:SCRATCH_EN: 0
; COMPUTE_PGM_RSRC2:USER_SGPR: 14
; COMPUTE_PGM_RSRC2:TRAP_HANDLER: 0
; COMPUTE_PGM_RSRC2:TGID_X_EN: 1
; COMPUTE_PGM_RSRC2:TGID_Y_EN: 1
; COMPUTE_PGM_RSRC2:TGID_Z_EN: 0
; COMPUTE_PGM_RSRC2:TIDIG_COMP_CNT: 1
	.section	.text._ZN9rocsparseL30bellmm_general_blockdim_kernelILi32ELi32E21rocsparse_complex_numIfElS2_S2_S2_EEv20rocsparse_operation_S3_20rocsparse_direction_T2_S5_NS_24const_host_device_scalarIT1_EES5_S5_PKS5_PKT3_PKT4_l16rocsparse_order_S8_PT5_lSH_21rocsparse_index_base_b,"axG",@progbits,_ZN9rocsparseL30bellmm_general_blockdim_kernelILi32ELi32E21rocsparse_complex_numIfElS2_S2_S2_EEv20rocsparse_operation_S3_20rocsparse_direction_T2_S5_NS_24const_host_device_scalarIT1_EES5_S5_PKS5_PKT3_PKT4_l16rocsparse_order_S8_PT5_lSH_21rocsparse_index_base_b,comdat
	.globl	_ZN9rocsparseL30bellmm_general_blockdim_kernelILi32ELi32E21rocsparse_complex_numIfElS2_S2_S2_EEv20rocsparse_operation_S3_20rocsparse_direction_T2_S5_NS_24const_host_device_scalarIT1_EES5_S5_PKS5_PKT3_PKT4_l16rocsparse_order_S8_PT5_lSH_21rocsparse_index_base_b ; -- Begin function _ZN9rocsparseL30bellmm_general_blockdim_kernelILi32ELi32E21rocsparse_complex_numIfElS2_S2_S2_EEv20rocsparse_operation_S3_20rocsparse_direction_T2_S5_NS_24const_host_device_scalarIT1_EES5_S5_PKS5_PKT3_PKT4_l16rocsparse_order_S8_PT5_lSH_21rocsparse_index_base_b
	.p2align	8
	.type	_ZN9rocsparseL30bellmm_general_blockdim_kernelILi32ELi32E21rocsparse_complex_numIfElS2_S2_S2_EEv20rocsparse_operation_S3_20rocsparse_direction_T2_S5_NS_24const_host_device_scalarIT1_EES5_S5_PKS5_PKT3_PKT4_l16rocsparse_order_S8_PT5_lSH_21rocsparse_index_base_b,@function
_ZN9rocsparseL30bellmm_general_blockdim_kernelILi32ELi32E21rocsparse_complex_numIfElS2_S2_S2_EEv20rocsparse_operation_S3_20rocsparse_direction_T2_S5_NS_24const_host_device_scalarIT1_EES5_S5_PKS5_PKT3_PKT4_l16rocsparse_order_S8_PT5_lSH_21rocsparse_index_base_b: ; @_ZN9rocsparseL30bellmm_general_blockdim_kernelILi32ELi32E21rocsparse_complex_numIfElS2_S2_S2_EEv20rocsparse_operation_S3_20rocsparse_direction_T2_S5_NS_24const_host_device_scalarIT1_EES5_S5_PKS5_PKT3_PKT4_l16rocsparse_order_S8_PT5_lSH_21rocsparse_index_base_b
; %bb.0:
	s_clause 0x2
	s_load_b128 s[24:27], s[0:1], 0x78
	s_load_b256 s[4:11], s[0:1], 0x10
	s_load_b64 s[12:13], s[0:1], 0x60
	s_mov_b32 s2, s15
	s_waitcnt lgkmcnt(0)
	s_bitcmp1_b32 s26, 0
	v_mov_b32_e32 v12, s8
	s_cselect_b32 s3, -1, 0
	s_delay_alu instid0(SALU_CYCLE_1)
	s_and_b32 vcc_lo, exec_lo, s3
	s_xor_b32 s3, s3, -1
	s_cbranch_vccz .LBB7_70
; %bb.1:
	v_cndmask_b32_e64 v1, 0, 1, s3
	v_mov_b32_e32 v13, s9
	s_and_not1_b32 vcc_lo, exec_lo, s3
	s_cbranch_vccz .LBB7_71
.LBB7_2:
	s_delay_alu instid0(VALU_DEP_2)
	v_cmp_ne_u32_e32 vcc_lo, 1, v1
	v_mov_b32_e32 v14, s12
	s_cbranch_vccz .LBB7_72
.LBB7_3:
	v_cmp_ne_u32_e32 vcc_lo, 1, v1
	v_mov_b32_e32 v15, s13
	s_cbranch_vccnz .LBB7_5
.LBB7_4:
	v_dual_mov_b32 v1, s12 :: v_dual_mov_b32 v2, s13
	flat_load_b32 v15, v[1:2] offset:4
.LBB7_5:
	s_waitcnt vmcnt(0) lgkmcnt(0)
	v_cmp_eq_f32_e32 vcc_lo, 0, v12
	v_cmp_eq_f32_e64 s3, 0, v13
	s_delay_alu instid0(VALU_DEP_1)
	s_and_b32 s9, vcc_lo, s3
	s_mov_b32 s3, -1
	s_and_saveexec_b32 s8, s9
; %bb.6:
	v_cmp_neq_f32_e32 vcc_lo, 1.0, v14
	v_cmp_neq_f32_e64 s3, 0, v15
	s_delay_alu instid0(VALU_DEP_1) | instskip(NEXT) | instid1(SALU_CYCLE_1)
	s_or_b32 s3, vcc_lo, s3
	s_or_not1_b32 s3, s3, exec_lo
; %bb.7:
	s_or_b32 exec_lo, exec_lo, s8
	s_and_saveexec_b32 s8, s3
	s_cbranch_execz .LBB7_69
; %bb.8:
	s_load_b64 s[12:13], s[0:1], 0x30
	s_mov_b32 s15, 0
	s_mov_b64 s[26:27], 0
	v_cmp_ge_i64_e64 s3, s[14:15], s[4:5]
	v_cmp_lt_i64_e64 s40, s[14:15], s[4:5]
	s_delay_alu instid0(VALU_DEP_2)
	s_and_b32 vcc_lo, exec_lo, s3
	s_cbranch_vccnz .LBB7_12
; %bb.9:
	s_waitcnt lgkmcnt(0)
	s_or_b64 s[8:9], s[10:11], s[12:13]
	s_mov_b32 s8, s15
	s_delay_alu instid0(SALU_CYCLE_1)
	s_cmp_lg_u64 s[8:9], 0
	s_cbranch_scc0 .LBB7_73
; %bb.10:
	s_ashr_i32 s8, s13, 31
	s_delay_alu instid0(SALU_CYCLE_1) | instskip(SKIP_2) | instid1(SALU_CYCLE_1)
	s_add_u32 s16, s12, s8
	s_mov_b32 s9, s8
	s_addc_u32 s17, s13, s8
	s_xor_b64 s[16:17], s[16:17], s[8:9]
	s_delay_alu instid0(SALU_CYCLE_1) | instskip(SKIP_3) | instid1(VALU_DEP_1)
	v_cvt_f32_u32_e32 v1, s16
	v_cvt_f32_u32_e32 v2, s17
	s_sub_u32 s18, 0, s16
	s_subb_u32 s19, 0, s17
	v_fmamk_f32 v1, v2, 0x4f800000, v1
	s_delay_alu instid0(VALU_DEP_1) | instskip(SKIP_2) | instid1(VALU_DEP_1)
	v_rcp_f32_e32 v1, v1
	s_waitcnt_depctr 0xfff
	v_mul_f32_e32 v1, 0x5f7ffffc, v1
	v_mul_f32_e32 v2, 0x2f800000, v1
	s_delay_alu instid0(VALU_DEP_1) | instskip(NEXT) | instid1(VALU_DEP_1)
	v_trunc_f32_e32 v2, v2
	v_fmamk_f32 v1, v2, 0xcf800000, v1
	v_cvt_u32_f32_e32 v2, v2
	s_delay_alu instid0(VALU_DEP_2) | instskip(NEXT) | instid1(VALU_DEP_2)
	v_cvt_u32_f32_e32 v1, v1
	v_readfirstlane_b32 s3, v2
	s_delay_alu instid0(VALU_DEP_2) | instskip(NEXT) | instid1(VALU_DEP_2)
	v_readfirstlane_b32 s15, v1
	s_mul_i32 s20, s18, s3
	s_delay_alu instid0(VALU_DEP_1)
	s_mul_hi_u32 s22, s18, s15
	s_mul_i32 s21, s19, s15
	s_add_i32 s20, s22, s20
	s_mul_i32 s23, s18, s15
	s_add_i32 s20, s20, s21
	s_mul_hi_u32 s22, s15, s23
	s_mul_hi_u32 s26, s3, s23
	s_mul_i32 s21, s3, s23
	s_mul_hi_u32 s23, s15, s20
	s_mul_i32 s15, s15, s20
	s_mul_hi_u32 s27, s3, s20
	s_add_u32 s15, s22, s15
	s_addc_u32 s22, 0, s23
	s_add_u32 s15, s15, s21
	s_mul_i32 s20, s3, s20
	s_addc_u32 s15, s22, s26
	s_addc_u32 s21, s27, 0
	s_add_u32 s15, s15, s20
	s_addc_u32 s20, 0, s21
	v_add_co_u32 v1, s15, v1, s15
	s_delay_alu instid0(VALU_DEP_1) | instskip(SKIP_1) | instid1(VALU_DEP_1)
	s_cmp_lg_u32 s15, 0
	s_addc_u32 s3, s3, s20
	v_readfirstlane_b32 s15, v1
	s_mul_i32 s20, s18, s3
	s_delay_alu instid0(VALU_DEP_1)
	s_mul_hi_u32 s21, s18, s15
	s_mul_i32 s19, s19, s15
	s_add_i32 s20, s21, s20
	s_mul_i32 s18, s18, s15
	s_add_i32 s20, s20, s19
	s_mul_hi_u32 s21, s3, s18
	s_mul_i32 s22, s3, s18
	s_mul_hi_u32 s18, s15, s18
	s_mul_hi_u32 s23, s15, s20
	s_mul_i32 s15, s15, s20
	s_mul_hi_u32 s19, s3, s20
	s_add_u32 s15, s18, s15
	s_addc_u32 s18, 0, s23
	s_add_u32 s15, s15, s22
	s_mul_i32 s20, s3, s20
	s_addc_u32 s15, s18, s21
	s_addc_u32 s18, s19, 0
	s_add_u32 s15, s15, s20
	s_addc_u32 s18, 0, s18
	v_add_co_u32 v1, s15, v1, s15
	s_delay_alu instid0(VALU_DEP_1) | instskip(SKIP_2) | instid1(SALU_CYCLE_1)
	s_cmp_lg_u32 s15, 0
	s_addc_u32 s3, s3, s18
	s_ashr_i32 s18, s11, 31
	s_add_u32 s20, s10, s18
	s_addc_u32 s21, s11, s18
	v_readfirstlane_b32 s11, v1
	s_mov_b32 s19, s18
	s_delay_alu instid0(SALU_CYCLE_1) | instskip(NEXT) | instid1(SALU_CYCLE_1)
	s_xor_b64 s[20:21], s[20:21], s[18:19]
	s_mul_i32 s22, s20, s3
	s_delay_alu instid0(VALU_DEP_1)
	s_mul_hi_u32 s23, s20, s11
	s_mul_hi_u32 s15, s20, s3
	;; [unrolled: 1-line block ×3, first 2 shown]
	s_mul_i32 s11, s21, s11
	s_add_u32 s22, s23, s22
	s_addc_u32 s15, 0, s15
	s_mul_hi_u32 s26, s21, s3
	s_add_u32 s11, s22, s11
	s_mul_i32 s3, s21, s3
	s_addc_u32 s11, s15, s27
	s_addc_u32 s15, s26, 0
	s_add_u32 s3, s11, s3
	s_addc_u32 s11, 0, s15
	s_mul_i32 s26, s16, s3
	s_mul_hi_u32 s15, s16, s3
	s_mul_i32 s23, s16, s11
	v_sub_co_u32 v1, s20, s20, s26
	s_mul_i32 s22, s17, s3
	s_add_i32 s15, s15, s23
	s_delay_alu instid0(SALU_CYCLE_1) | instskip(NEXT) | instid1(VALU_DEP_1)
	s_add_i32 s15, s15, s22
	v_sub_co_u32 v2, s23, v1, s16
	s_sub_i32 s22, s21, s15
	s_cmp_lg_u32 s20, 0
	s_subb_u32 s22, s22, s17
	s_cmp_lg_u32 s23, 0
	v_readfirstlane_b32 s23, v2
	s_subb_u32 s22, s22, 0
	s_delay_alu instid0(SALU_CYCLE_1) | instskip(SKIP_1) | instid1(VALU_DEP_1)
	s_cmp_ge_u32 s22, s17
	s_cselect_b32 s26, -1, 0
	s_cmp_ge_u32 s23, s16
	s_cselect_b32 s23, -1, 0
	s_cmp_eq_u32 s22, s17
	s_cselect_b32 s22, s23, s26
	s_add_u32 s23, s3, 1
	s_addc_u32 s26, s11, 0
	s_add_u32 s27, s3, 2
	s_addc_u32 s28, s11, 0
	s_cmp_lg_u32 s22, 0
	s_cselect_b32 s22, s27, s23
	s_cselect_b32 s23, s28, s26
	s_cmp_lg_u32 s20, 0
	v_readfirstlane_b32 s20, v1
	s_subb_u32 s15, s21, s15
	s_delay_alu instid0(SALU_CYCLE_1) | instskip(SKIP_1) | instid1(VALU_DEP_1)
	s_cmp_ge_u32 s15, s17
	s_cselect_b32 s21, -1, 0
	s_cmp_ge_u32 s20, s16
	s_cselect_b32 s16, -1, 0
	s_cmp_eq_u32 s15, s17
	s_cselect_b32 s15, s16, s21
	s_delay_alu instid0(SALU_CYCLE_1) | instskip(SKIP_3) | instid1(SALU_CYCLE_1)
	s_cmp_lg_u32 s15, 0
	s_cselect_b32 s17, s23, s11
	s_cselect_b32 s16, s22, s3
	s_xor_b64 s[8:9], s[18:19], s[8:9]
	s_xor_b64 s[16:17], s[16:17], s[8:9]
	s_delay_alu instid0(SALU_CYCLE_1)
	s_sub_u32 s26, s16, s8
	s_subb_u32 s27, s17, s9
	s_cbranch_execnz .LBB7_12
.LBB7_11:
	v_cvt_f32_u32_e32 v1, s12
	s_sub_i32 s8, 0, s12
	s_mov_b32 s27, 0
	s_delay_alu instid0(VALU_DEP_1) | instskip(SKIP_2) | instid1(VALU_DEP_1)
	v_rcp_iflag_f32_e32 v1, v1
	s_waitcnt_depctr 0xfff
	v_mul_f32_e32 v1, 0x4f7ffffe, v1
	v_cvt_u32_f32_e32 v1, v1
	s_delay_alu instid0(VALU_DEP_1) | instskip(NEXT) | instid1(VALU_DEP_1)
	v_readfirstlane_b32 s3, v1
	s_mul_i32 s8, s8, s3
	s_delay_alu instid0(SALU_CYCLE_1) | instskip(NEXT) | instid1(SALU_CYCLE_1)
	s_mul_hi_u32 s8, s3, s8
	s_add_i32 s3, s3, s8
	s_delay_alu instid0(SALU_CYCLE_1) | instskip(NEXT) | instid1(SALU_CYCLE_1)
	s_mul_hi_u32 s3, s10, s3
	s_mul_i32 s8, s3, s12
	s_add_i32 s9, s3, 1
	s_sub_i32 s8, s10, s8
	s_delay_alu instid0(SALU_CYCLE_1)
	s_sub_i32 s10, s8, s12
	s_cmp_ge_u32 s8, s12
	s_cselect_b32 s3, s9, s3
	s_cselect_b32 s8, s10, s8
	s_add_i32 s9, s3, 1
	s_cmp_ge_u32 s8, s12
	s_cselect_b32 s26, s9, s3
.LBB7_12:
	s_waitcnt lgkmcnt(0)
	v_cmp_lt_i64_e64 s3, s[12:13], 1
	s_delay_alu instid0(VALU_DEP_1)
	s_and_b32 vcc_lo, exec_lo, s3
	s_cbranch_vccnz .LBB7_69
; %bb.13:
	s_load_b256 s[16:23], s[0:1], 0x38
	v_bfe_u32 v16, v0, 10, 10
	s_lshl_b32 s2, s2, 5
	v_and_b32_e32 v17, 0x3ff, v0
	s_clause 0x2
	s_load_b128 s[28:31], s[0:1], 0x0
	s_load_b128 s[8:11], s[0:1], 0x68
	s_load_b32 s0, s[0:1], 0x58
	s_mul_i32 s3, s12, s13
	v_add_co_u32 v0, s1, s2, v16
	s_delay_alu instid0(VALU_DEP_1)
	v_add_co_ci_u32_e64 v1, null, 0, 0, s1
	v_lshlrev_b32_e32 v18, 3, v17
	s_mul_i32 s1, s14, s13
	s_mul_hi_u32 s2, s14, s12
	s_mul_hi_u32 s34, s12, s12
	s_add_i32 s33, s2, s1
	s_add_i32 s1, s34, s3
	v_lshlrev_b32_e32 v6, 3, v16
	s_add_i32 s34, s1, s3
	s_mov_b32 s35, s25
	v_cmp_gt_i64_e64 s41, s[26:27], 0
	s_waitcnt lgkmcnt(0)
	v_mul_lo_u32 v4, v1, s22
	v_mul_lo_u32 v5, v0, s23
	v_mad_u64_u32 v[2:3], null, v0, s22, 0
	s_cmpk_eq_i32 s29, 0x6f
	v_lshl_add_u32 v27, v16, 8, 0x2000
	s_cselect_b32 s25, -1, 0
	s_cmp_lg_u32 s0, 1
	v_cmp_gt_i64_e64 s0, s[6:7], v[0:1]
	s_cselect_b32 s6, -1, 0
	s_delay_alu instid0(VALU_DEP_3) | instskip(SKIP_1) | instid1(VALU_DEP_1)
	v_add3_u32 v3, v3, v5, v4
	v_add_co_u32 v4, s1, s20, v18
	v_add_co_ci_u32_e64 v5, null, s21, 0, s1
	s_delay_alu instid0(VALU_DEP_3) | instskip(SKIP_4) | instid1(VALU_DEP_2)
	v_lshlrev_b64 v[2:3], 3, v[2:3]
	s_cmp_lg_u32 s30, 0
	v_add_co_u32 v19, s1, s18, v6
	s_cselect_b32 s30, -1, 0
	s_cmpk_eq_i32 s29, 0x71
	v_add_co_u32 v21, vcc_lo, v4, v2
	v_add_co_ci_u32_e32 v22, vcc_lo, v5, v3, vcc_lo
	v_lshlrev_b64 v[2:3], 3, v[0:1]
	v_lshlrev_b32_e32 v4, 5, v16
	v_add_co_ci_u32_e64 v20, null, s19, 0, s1
	s_cselect_b32 s1, -1, 0
	s_cmpk_lg_i32 s29, 0x71
	s_delay_alu instid0(VALU_DEP_3)
	v_add_co_u32 v23, vcc_lo, s20, v2
	v_add_co_ci_u32_e32 v24, vcc_lo, s21, v3, vcc_lo
	s_cselect_b32 s7, -1, 0
	s_cmpk_lg_i32 s28, 0x71
	v_add_lshl_u32 v25, v4, v17, 3
	v_mul_lo_u32 v4, v1, s10
	v_mul_lo_u32 v5, v0, s11
	v_mad_u64_u32 v[2:3], null, v0, s10, 0
	s_cselect_b32 s20, -1, 0
	v_cmp_neq_f32_e32 vcc_lo, 0, v14
	s_and_b32 s21, s20, s1
	s_or_b32 s36, s20, s7
	s_xor_b32 s37, s21, -1
	s_or_b32 s38, s20, s1
	v_cmp_neq_f32_e64 s1, 0, v15
	s_cmp_lg_u32 s24, 1
	v_add_nc_u32_e32 v26, 0x2000, v25
	v_add3_u32 v3, v3, v5, v4
	s_cselect_b32 s39, -1, 0
	s_xor_b32 s6, s25, s6
	s_mul_i32 s15, s14, s12
	s_mul_i32 s31, s12, s12
	s_mov_b64 s[2:3], 0
	s_and_b32 s40, s40, s0
	s_or_b32 s42, vcc_lo, s1
	s_xor_b32 s43, s6, -1
	s_branch .LBB7_15
.LBB7_14:                               ;   in Loop: Header=BB7_15 Depth=1
	s_or_b32 exec_lo, exec_lo, s1
	s_add_u32 s2, s2, 32
	s_addc_u32 s3, s3, 0
	s_delay_alu instid0(SALU_CYCLE_1) | instskip(NEXT) | instid1(VALU_DEP_1)
	v_cmp_lt_i64_e64 s1, s[2:3], s[12:13]
	s_and_b32 vcc_lo, exec_lo, s1
	s_cbranch_vccz .LBB7_69
.LBB7_15:                               ; =>This Loop Header: Depth=1
                                        ;     Child Loop BB7_18 Depth 2
                                        ;       Child Loop BB7_21 Depth 3
                                        ;         Child Loop BB7_52 Depth 4
                                        ;         Child Loop BB7_42 Depth 4
	;; [unrolled: 1-line block ×4, first 2 shown]
	v_add_co_u32 v4, s1, s2, v17
	s_delay_alu instid0(VALU_DEP_1) | instskip(SKIP_2) | instid1(VALU_DEP_2)
	v_add_co_ci_u32_e64 v5, null, s3, 0, s1
	v_dual_mov_b32 v29, 0 :: v_dual_mov_b32 v28, 0
	s_and_not1_b32 vcc_lo, exec_lo, s41
	v_cmp_gt_i64_e64 s1, s[12:13], v[4:5]
	s_cbranch_vccnz .LBB7_60
; %bb.16:                               ;   in Loop: Header=BB7_15 Depth=1
	v_mul_lo_u32 v8, v5, s12
	v_mul_lo_u32 v9, v4, s13
	v_mad_u64_u32 v[6:7], null, v4, s12, 0
	v_dual_mov_b32 v29, 0 :: v_dual_mov_b32 v28, 0
	s_mov_b64 s[6:7], 0
	s_delay_alu instid0(VALU_DEP_2) | instskip(SKIP_1) | instid1(VALU_DEP_2)
	v_add3_u32 v7, v7, v9, v8
	v_lshlrev_b64 v[8:9], 3, v[4:5]
	v_lshlrev_b64 v[6:7], 3, v[6:7]
	s_delay_alu instid0(VALU_DEP_2) | instskip(NEXT) | instid1(VALU_DEP_3)
	v_add_co_u32 v30, vcc_lo, s18, v8
	v_add_co_ci_u32_e32 v31, vcc_lo, s19, v9, vcc_lo
	s_delay_alu instid0(VALU_DEP_3) | instskip(NEXT) | instid1(VALU_DEP_4)
	v_add_co_u32 v32, vcc_lo, v19, v6
	v_add_co_ci_u32_e32 v33, vcc_lo, v20, v7, vcc_lo
	s_branch .LBB7_18
.LBB7_17:                               ;   in Loop: Header=BB7_18 Depth=2
	s_add_u32 s6, s6, 1
	s_addc_u32 s7, s7, 0
	s_delay_alu instid0(SALU_CYCLE_1)
	s_cmp_eq_u64 s[6:7], s[26:27]
	s_cbranch_scc1 .LBB7_60
.LBB7_18:                               ;   Parent Loop BB7_15 Depth=1
                                        ; =>  This Loop Header: Depth=2
                                        ;       Child Loop BB7_21 Depth 3
                                        ;         Child Loop BB7_52 Depth 4
                                        ;         Child Loop BB7_42 Depth 4
	;; [unrolled: 1-line block ×4, first 2 shown]
	s_mul_i32 s20, s6, s5
	s_mul_hi_u32 s21, s6, s4
	s_mul_i32 s24, s6, s4
	s_add_i32 s20, s21, s20
	s_mul_i32 s21, s7, s4
	s_delay_alu instid0(SALU_CYCLE_1)
	s_add_i32 s21, s20, s21
	s_add_u32 s20, s24, s14
	s_addc_u32 s21, s21, 0
	s_mul_hi_u32 s24, s31, s20
	s_mul_i32 s25, s31, s21
	s_mul_i32 s29, s34, s20
	s_add_i32 s28, s24, s25
	s_lshl_b64 s[24:25], s[20:21], 3
	s_add_i32 s21, s28, s29
	s_add_u32 s24, s16, s24
	s_addc_u32 s25, s17, s25
	s_mul_i32 s20, s31, s20
	s_load_b64 s[24:25], s[24:25], 0x0
	s_waitcnt lgkmcnt(0)
	s_sub_u32 s24, s24, s35
	s_subb_u32 s25, s25, 0
	s_lshl_b64 s[28:29], s[20:21], 3
	s_mul_i32 s21, s24, s13
	s_mul_hi_u32 s44, s24, s12
	s_mul_i32 s45, s25, s12
	s_add_i32 s21, s44, s21
	s_mul_i32 s20, s24, s12
	s_add_i32 s21, s21, s45
	v_add_co_u32 v34, vcc_lo, v30, s28
	v_cmp_gt_i64_e64 s44, s[24:25], -1
	s_lshl_b64 s[24:25], s[20:21], 3
	v_add_co_ci_u32_e32 v35, vcc_lo, s29, v31, vcc_lo
	v_add_co_u32 v36, vcc_lo, v21, s24
	v_add_co_ci_u32_e32 v37, vcc_lo, s25, v22, vcc_lo
	v_add_co_u32 v38, vcc_lo, v32, s28
	v_add_co_ci_u32_e32 v39, vcc_lo, s29, v33, vcc_lo
	s_mov_b64 s[24:25], 0
	s_branch .LBB7_21
.LBB7_19:                               ;   in Loop: Header=BB7_21 Depth=3
	s_delay_alu instid0(VALU_DEP_1)
	v_dual_mov_b32 v28, v6 :: v_dual_mov_b32 v29, v7
.LBB7_20:                               ;   in Loop: Header=BB7_21 Depth=3
	s_add_u32 s24, s24, 32
	s_addc_u32 s25, s25, 0
	s_delay_alu instid0(SALU_CYCLE_1)
	v_cmp_ge_i64_e64 s28, s[24:25], s[12:13]
	s_barrier
	buffer_gl0_inv
	s_and_b32 vcc_lo, exec_lo, s28
	s_cbranch_vccnz .LBB7_17
.LBB7_21:                               ;   Parent Loop BB7_15 Depth=1
                                        ;     Parent Loop BB7_18 Depth=2
                                        ; =>    This Loop Header: Depth=3
                                        ;         Child Loop BB7_52 Depth 4
                                        ;         Child Loop BB7_42 Depth 4
	;; [unrolled: 1-line block ×4, first 2 shown]
	v_add_co_u32 v8, s28, s24, v17
	s_delay_alu instid0(VALU_DEP_1) | instskip(NEXT) | instid1(VALU_DEP_1)
	v_add_co_ci_u32_e64 v9, null, s25, 0, s28
	v_cmp_gt_i64_e32 vcc_lo, s[12:13], v[8:9]
	s_and_b32 s28, s0, vcc_lo
	s_and_b32 vcc_lo, exec_lo, s43
	s_and_b32 s45, s28, s44
	s_cbranch_vccz .LBB7_25
; %bb.22:                               ;   in Loop: Header=BB7_21 Depth=3
	s_mov_b32 s29, 0
	s_mov_b32 s28, 0
                                        ; implicit-def: $vgpr6_vgpr7
	s_and_saveexec_b32 s46, s45
	s_delay_alu instid0(SALU_CYCLE_1)
	s_xor_b32 s46, exec_lo, s46
; %bb.23:                               ;   in Loop: Header=BB7_21 Depth=3
	v_add_co_u32 v8, vcc_lo, v8, s20
	v_add_co_ci_u32_e32 v6, vcc_lo, s21, v9, vcc_lo
	s_mov_b32 s28, exec_lo
	s_delay_alu instid0(VALU_DEP_2) | instskip(NEXT) | instid1(VALU_DEP_2)
	v_mul_lo_u32 v10, v8, s23
	v_mul_lo_u32 v9, v6, s22
	v_mad_u64_u32 v[6:7], null, v8, s22, 0
	s_delay_alu instid0(VALU_DEP_1) | instskip(NEXT) | instid1(VALU_DEP_1)
	v_add3_u32 v7, v7, v10, v9
	v_lshlrev_b64 v[6:7], 3, v[6:7]
	s_delay_alu instid0(VALU_DEP_1) | instskip(NEXT) | instid1(VALU_DEP_2)
	v_add_co_u32 v6, vcc_lo, v23, v6
	v_add_co_ci_u32_e32 v7, vcc_lo, v24, v7, vcc_lo
; %bb.24:                               ;   in Loop: Header=BB7_21 Depth=3
	s_or_b32 exec_lo, exec_lo, s46
	s_delay_alu instid0(SALU_CYCLE_1)
	s_and_b32 vcc_lo, exec_lo, s29
	s_cbranch_vccnz .LBB7_26
	s_branch .LBB7_29
.LBB7_25:                               ;   in Loop: Header=BB7_21 Depth=3
	s_mov_b32 s29, -1
	s_mov_b32 s28, 0
                                        ; implicit-def: $vgpr6_vgpr7
	s_cbranch_execz .LBB7_29
.LBB7_26:                               ;   in Loop: Header=BB7_21 Depth=3
                                        ; implicit-def: $vgpr6_vgpr7
	s_and_saveexec_b32 s29, s45
; %bb.27:                               ;   in Loop: Header=BB7_21 Depth=3
	s_lshl_b64 s[46:47], s[24:25], 3
	s_or_b32 s28, s28, exec_lo
	v_add_co_u32 v6, vcc_lo, v36, s46
	v_add_co_ci_u32_e32 v7, vcc_lo, s47, v37, vcc_lo
; %bb.28:                               ;   in Loop: Header=BB7_21 Depth=3
	s_or_b32 exec_lo, exec_lo, s29
	s_mov_b32 s29, 0
.LBB7_29:                               ;   in Loop: Header=BB7_21 Depth=3
	s_delay_alu instid0(SALU_CYCLE_1)
	v_dual_mov_b32 v10, s29 :: v_dual_mov_b32 v11, s29
	s_and_saveexec_b32 s29, s28
	s_cbranch_execz .LBB7_31
; %bb.30:                               ;   in Loop: Header=BB7_21 Depth=3
	global_load_b64 v[10:11], v[6:7], off
.LBB7_31:                               ;   in Loop: Header=BB7_21 Depth=3
	s_or_b32 exec_lo, exec_lo, s29
	v_add_co_u32 v8, s28, s24, v16
	s_delay_alu instid0(VALU_DEP_1)
	v_add_co_ci_u32_e64 v9, null, s25, 0, s28
	s_waitcnt vmcnt(0)
	ds_store_b64 v26, v[10:11]
	v_cmp_gt_i64_e32 vcc_lo, s[12:13], v[8:9]
	s_and_b32 s28, s1, vcc_lo
	s_and_b32 vcc_lo, exec_lo, s30
	s_and_b32 s45, s28, s44
	s_cbranch_vccz .LBB7_44
; %bb.32:                               ;   in Loop: Header=BB7_21 Depth=3
	s_mov_b32 s29, 0
	s_mov_b32 s28, 0
                                        ; implicit-def: $vgpr6_vgpr7
	s_and_saveexec_b32 s46, s45
	s_delay_alu instid0(SALU_CYCLE_1)
	s_xor_b32 s46, exec_lo, s46
; %bb.33:                               ;   in Loop: Header=BB7_21 Depth=3
	v_mul_lo_u32 v9, v9, s12
	v_mul_lo_u32 v10, v8, s13
	v_mad_u64_u32 v[6:7], null, v8, s12, 0
	s_mov_b32 s28, exec_lo
	s_delay_alu instid0(VALU_DEP_1) | instskip(NEXT) | instid1(VALU_DEP_1)
	v_add3_u32 v7, v7, v10, v9
	v_lshlrev_b64 v[6:7], 3, v[6:7]
	s_delay_alu instid0(VALU_DEP_1) | instskip(NEXT) | instid1(VALU_DEP_2)
	v_add_co_u32 v6, vcc_lo, v34, v6
	v_add_co_ci_u32_e32 v7, vcc_lo, v35, v7, vcc_lo
; %bb.34:                               ;   in Loop: Header=BB7_21 Depth=3
	s_or_b32 exec_lo, exec_lo, s46
	s_delay_alu instid0(SALU_CYCLE_1)
	s_and_b32 vcc_lo, exec_lo, s29
	s_cbranch_vccnz .LBB7_45
.LBB7_35:                               ;   in Loop: Header=BB7_21 Depth=3
	v_dual_mov_b32 v8, s29 :: v_dual_mov_b32 v9, s29
	s_and_saveexec_b32 s29, s28
	s_cbranch_execz .LBB7_37
.LBB7_36:                               ;   in Loop: Header=BB7_21 Depth=3
	global_load_b64 v[8:9], v[6:7], off
.LBB7_37:                               ;   in Loop: Header=BB7_21 Depth=3
	s_or_b32 exec_lo, exec_lo, s29
	s_delay_alu instid0(SALU_CYCLE_1)
	s_and_not1_b32 vcc_lo, exec_lo, s44
	s_waitcnt vmcnt(0)
	ds_store_b64 v25, v[8:9]
	s_waitcnt lgkmcnt(0)
	s_waitcnt_vscnt null, 0x0
	s_barrier
	buffer_gl0_inv
	s_cbranch_vccnz .LBB7_20
; %bb.38:                               ;   in Loop: Header=BB7_21 Depth=3
	s_and_b32 vcc_lo, exec_lo, s36
	s_cbranch_vccz .LBB7_48
; %bb.39:                               ;   in Loop: Header=BB7_21 Depth=3
	s_and_b32 vcc_lo, exec_lo, s37
	s_cbranch_vccz .LBB7_49
; %bb.40:                               ;   in Loop: Header=BB7_21 Depth=3
	s_and_not1_b32 vcc_lo, exec_lo, s38
	s_cbranch_vccnz .LBB7_50
; %bb.41:                               ;   in Loop: Header=BB7_21 Depth=3
	v_dual_mov_b32 v8, v27 :: v_dual_mov_b32 v9, v18
	v_dual_mov_b32 v7, v29 :: v_dual_mov_b32 v6, v28
	s_mov_b64 s[28:29], 32
	s_set_inst_prefetch_distance 0x1
	.p2align	6
.LBB7_42:                               ;   Parent Loop BB7_15 Depth=1
                                        ;     Parent Loop BB7_18 Depth=2
                                        ;       Parent Loop BB7_21 Depth=3
                                        ; =>      This Inner Loop Header: Depth=4
	ds_load_2addr_b64 v[40:43], v9 offset1:32
	ds_load_b128 v[44:47], v8
	ds_load_b128 v[48:51], v8 offset:16
	ds_load_2addr_b64 v[52:55], v9 offset0:64 offset1:96
	v_add_nc_u32_e32 v9, 0x400, v9
	s_add_u32 s28, s28, -4
	s_addc_u32 s29, s29, -1
	v_add_nc_u32_e32 v8, 32, v8
	s_cmp_lg_u64 s[28:29], 0
	s_waitcnt lgkmcnt(2)
	v_fmac_f32_e32 v7, v41, v44
	s_delay_alu instid0(VALU_DEP_1) | instskip(NEXT) | instid1(VALU_DEP_1)
	v_fmac_f32_e32 v7, v40, v45
	v_dual_fmac_f32 v6, v40, v44 :: v_dual_fmac_f32 v7, v43, v46
	s_delay_alu instid0(VALU_DEP_1) | instskip(NEXT) | instid1(VALU_DEP_1)
	v_fma_f32 v6, -v41, v45, v6
	v_fmac_f32_e32 v6, v42, v46
	s_delay_alu instid0(VALU_DEP_1) | instskip(SKIP_1) | instid1(VALU_DEP_1)
	v_fma_f32 v6, -v43, v47, v6
	s_waitcnt lgkmcnt(0)
	v_dual_fmac_f32 v7, v42, v47 :: v_dual_fmac_f32 v6, v52, v48
	s_delay_alu instid0(VALU_DEP_1) | instskip(NEXT) | instid1(VALU_DEP_2)
	v_fmac_f32_e32 v7, v53, v48
	v_fma_f32 v6, -v53, v49, v6
	s_delay_alu instid0(VALU_DEP_1) | instskip(NEXT) | instid1(VALU_DEP_1)
	v_dual_fmac_f32 v7, v52, v49 :: v_dual_fmac_f32 v6, v54, v50
	v_fmac_f32_e32 v7, v55, v50
	s_delay_alu instid0(VALU_DEP_2) | instskip(NEXT) | instid1(VALU_DEP_2)
	v_fma_f32 v6, -v55, v51, v6
	v_fmac_f32_e32 v7, v54, v51
	s_cbranch_scc1 .LBB7_42
; %bb.43:                               ;   in Loop: Header=BB7_21 Depth=3
	s_set_inst_prefetch_distance 0x2
	s_branch .LBB7_53
.LBB7_44:                               ;   in Loop: Header=BB7_21 Depth=3
	s_mov_b32 s29, -1
	s_mov_b32 s28, 0
                                        ; implicit-def: $vgpr6_vgpr7
	s_cbranch_execz .LBB7_35
.LBB7_45:                               ;   in Loop: Header=BB7_21 Depth=3
                                        ; implicit-def: $vgpr6_vgpr7
	s_and_saveexec_b32 s29, s45
; %bb.46:                               ;   in Loop: Header=BB7_21 Depth=3
	s_lshl_b64 s[46:47], s[24:25], 3
	s_or_b32 s28, s28, exec_lo
	v_add_co_u32 v6, vcc_lo, v38, s46
	v_add_co_ci_u32_e32 v7, vcc_lo, s47, v39, vcc_lo
; %bb.47:                               ;   in Loop: Header=BB7_21 Depth=3
	s_or_b32 exec_lo, exec_lo, s29
	s_mov_b32 s29, 0
	s_delay_alu instid0(SALU_CYCLE_1)
	v_dual_mov_b32 v8, s29 :: v_dual_mov_b32 v9, s29
	s_and_saveexec_b32 s29, s28
	s_cbranch_execnz .LBB7_36
	s_branch .LBB7_37
.LBB7_48:                               ;   in Loop: Header=BB7_21 Depth=3
                                        ; implicit-def: $vgpr7
                                        ; implicit-def: $vgpr6
	s_branch .LBB7_57
.LBB7_49:                               ;   in Loop: Header=BB7_21 Depth=3
                                        ; implicit-def: $vgpr7
                                        ; implicit-def: $vgpr6
	s_branch .LBB7_54
.LBB7_50:                               ;   in Loop: Header=BB7_21 Depth=3
                                        ; implicit-def: $vgpr7
                                        ; implicit-def: $vgpr6
	s_cbranch_execz .LBB7_53
; %bb.51:                               ;   in Loop: Header=BB7_21 Depth=3
	v_dual_mov_b32 v8, v27 :: v_dual_mov_b32 v9, v18
	v_dual_mov_b32 v7, v29 :: v_dual_mov_b32 v6, v28
	s_mov_b64 s[28:29], 32
	s_set_inst_prefetch_distance 0x1
	.p2align	6
.LBB7_52:                               ;   Parent Loop BB7_15 Depth=1
                                        ;     Parent Loop BB7_18 Depth=2
                                        ;       Parent Loop BB7_21 Depth=3
                                        ; =>      This Inner Loop Header: Depth=4
	ds_load_2addr_b64 v[40:43], v9 offset1:32
	ds_load_b128 v[44:47], v8
	ds_load_b128 v[48:51], v8 offset:16
	ds_load_2addr_b64 v[52:55], v9 offset0:64 offset1:96
	s_add_u32 s28, s28, -4
	v_add_nc_u32_e32 v8, 32, v8
	s_addc_u32 s29, s29, -1
	v_add_nc_u32_e32 v9, 0x400, v9
	s_cmp_eq_u64 s[28:29], 0
	s_waitcnt lgkmcnt(2)
	v_fma_f32 v7, -v41, v44, v7
	s_delay_alu instid0(VALU_DEP_1) | instskip(NEXT) | instid1(VALU_DEP_1)
	v_fmac_f32_e32 v7, v40, v45
	v_fma_f32 v7, -v43, v46, v7
	s_delay_alu instid0(VALU_DEP_1) | instskip(SKIP_1) | instid1(VALU_DEP_1)
	v_dual_fmac_f32 v6, v40, v44 :: v_dual_fmac_f32 v7, v42, v47
	s_waitcnt lgkmcnt(0)
	v_fma_f32 v7, -v53, v48, v7
	s_delay_alu instid0(VALU_DEP_1) | instskip(NEXT) | instid1(VALU_DEP_1)
	v_fmac_f32_e32 v7, v52, v49
	v_fma_f32 v7, -v55, v50, v7
	s_delay_alu instid0(VALU_DEP_1) | instskip(NEXT) | instid1(VALU_DEP_1)
	v_dual_fmac_f32 v6, v41, v45 :: v_dual_fmac_f32 v7, v54, v51
	v_fmac_f32_e32 v6, v42, v46
	s_delay_alu instid0(VALU_DEP_1) | instskip(NEXT) | instid1(VALU_DEP_1)
	v_fmac_f32_e32 v6, v43, v47
	v_fmac_f32_e32 v6, v52, v48
	s_delay_alu instid0(VALU_DEP_1) | instskip(NEXT) | instid1(VALU_DEP_1)
	v_fmac_f32_e32 v6, v53, v49
	v_fmac_f32_e32 v6, v54, v50
	s_delay_alu instid0(VALU_DEP_1)
	v_fmac_f32_e32 v6, v55, v51
	s_cbranch_scc0 .LBB7_52
.LBB7_53:                               ;   in Loop: Header=BB7_21 Depth=3
	s_set_inst_prefetch_distance 0x2
	s_cbranch_execnz .LBB7_56
.LBB7_54:                               ;   in Loop: Header=BB7_21 Depth=3
	v_dual_mov_b32 v8, v27 :: v_dual_mov_b32 v9, v18
	v_dual_mov_b32 v7, v29 :: v_dual_mov_b32 v6, v28
	s_mov_b64 s[28:29], 32
	s_set_inst_prefetch_distance 0x1
	.p2align	6
.LBB7_55:                               ;   Parent Loop BB7_15 Depth=1
                                        ;     Parent Loop BB7_18 Depth=2
                                        ;       Parent Loop BB7_21 Depth=3
                                        ; =>      This Inner Loop Header: Depth=4
	ds_load_2addr_b64 v[40:43], v9 offset1:32
	ds_load_b128 v[44:47], v8
	ds_load_b128 v[48:51], v8 offset:16
	ds_load_2addr_b64 v[52:55], v9 offset0:64 offset1:96
	s_add_u32 s28, s28, -4
	v_add_nc_u32_e32 v8, 32, v8
	s_addc_u32 s29, s29, -1
	v_add_nc_u32_e32 v9, 0x400, v9
	s_cmp_eq_u64 s[28:29], 0
	s_waitcnt lgkmcnt(2)
	v_fmac_f32_e32 v7, v41, v44
	s_delay_alu instid0(VALU_DEP_1) | instskip(NEXT) | instid1(VALU_DEP_1)
	v_fma_f32 v7, v40, -v45, v7
	v_dual_fmac_f32 v6, v40, v44 :: v_dual_fmac_f32 v7, v43, v46
	s_delay_alu instid0(VALU_DEP_1) | instskip(SKIP_1) | instid1(VALU_DEP_1)
	v_fma_f32 v7, v42, -v47, v7
	s_waitcnt lgkmcnt(0)
	v_fmac_f32_e32 v7, v53, v48
	s_delay_alu instid0(VALU_DEP_1) | instskip(NEXT) | instid1(VALU_DEP_1)
	v_fma_f32 v7, v52, -v49, v7
	v_dual_fmac_f32 v6, v41, v45 :: v_dual_fmac_f32 v7, v55, v50
	s_delay_alu instid0(VALU_DEP_1) | instskip(NEXT) | instid1(VALU_DEP_2)
	v_fmac_f32_e32 v6, v42, v46
	v_fma_f32 v7, v54, -v51, v7
	s_delay_alu instid0(VALU_DEP_2) | instskip(NEXT) | instid1(VALU_DEP_1)
	v_fmac_f32_e32 v6, v43, v47
	v_fmac_f32_e32 v6, v52, v48
	s_delay_alu instid0(VALU_DEP_1) | instskip(NEXT) | instid1(VALU_DEP_1)
	v_fmac_f32_e32 v6, v53, v49
	v_fmac_f32_e32 v6, v54, v50
	s_delay_alu instid0(VALU_DEP_1)
	v_fmac_f32_e32 v6, v55, v51
	s_cbranch_scc0 .LBB7_55
.LBB7_56:                               ;   in Loop: Header=BB7_21 Depth=3
	s_set_inst_prefetch_distance 0x2
	s_cbranch_execnz .LBB7_19
.LBB7_57:                               ;   in Loop: Header=BB7_21 Depth=3
	v_dual_mov_b32 v6, v27 :: v_dual_mov_b32 v7, v18
	s_mov_b64 s[28:29], 32
	s_set_inst_prefetch_distance 0x1
	.p2align	6
.LBB7_58:                               ;   Parent Loop BB7_15 Depth=1
                                        ;     Parent Loop BB7_18 Depth=2
                                        ;       Parent Loop BB7_21 Depth=3
                                        ; =>      This Inner Loop Header: Depth=4
	ds_load_2addr_b64 v[8:11], v7 offset1:32
	ds_load_b128 v[40:43], v6
	ds_load_b128 v[44:47], v6 offset:16
	ds_load_2addr_b64 v[48:51], v7 offset0:64 offset1:96
	v_add_nc_u32_e32 v7, 0x400, v7
	s_add_u32 s28, s28, -4
	s_addc_u32 s29, s29, -1
	v_add_nc_u32_e32 v6, 32, v6
	s_cmp_eq_u64 s[28:29], 0
	s_waitcnt lgkmcnt(2)
	v_fmac_f32_e32 v28, v8, v40
	v_fma_f32 v29, -v9, v40, v29
	s_delay_alu instid0(VALU_DEP_2) | instskip(NEXT) | instid1(VALU_DEP_2)
	v_fma_f32 v9, v9, -v41, v28
	v_fma_f32 v8, v8, -v41, v29
	s_delay_alu instid0(VALU_DEP_2) | instskip(NEXT) | instid1(VALU_DEP_2)
	v_fmac_f32_e32 v9, v10, v42
	v_fma_f32 v8, -v11, v42, v8
	s_delay_alu instid0(VALU_DEP_2) | instskip(NEXT) | instid1(VALU_DEP_2)
	v_fma_f32 v9, v11, -v43, v9
	v_fma_f32 v8, v10, -v43, v8
	s_waitcnt lgkmcnt(0)
	s_delay_alu instid0(VALU_DEP_2) | instskip(NEXT) | instid1(VALU_DEP_2)
	v_fmac_f32_e32 v9, v48, v44
	v_fma_f32 v8, -v49, v44, v8
	s_delay_alu instid0(VALU_DEP_2) | instskip(NEXT) | instid1(VALU_DEP_2)
	v_fma_f32 v9, v49, -v45, v9
	v_fma_f32 v8, v48, -v45, v8
	s_delay_alu instid0(VALU_DEP_2) | instskip(NEXT) | instid1(VALU_DEP_2)
	v_fmac_f32_e32 v9, v50, v46
	v_fma_f32 v8, -v51, v46, v8
	s_delay_alu instid0(VALU_DEP_2) | instskip(NEXT) | instid1(VALU_DEP_2)
	v_fma_f32 v28, v51, -v47, v9
	v_fma_f32 v29, v50, -v47, v8
	s_cbranch_scc0 .LBB7_58
; %bb.59:                               ;   in Loop: Header=BB7_21 Depth=3
	s_set_inst_prefetch_distance 0x2
	s_delay_alu instid0(VALU_DEP_1)
	v_dual_mov_b32 v7, v29 :: v_dual_mov_b32 v6, v28
	s_branch .LBB7_19
.LBB7_60:                               ;   in Loop: Header=BB7_15 Depth=1
	v_add_co_u32 v8, vcc_lo, v4, s15
	v_add_co_ci_u32_e32 v9, vcc_lo, s33, v5, vcc_lo
	s_and_b32 vcc_lo, exec_lo, s39
	s_cbranch_vccz .LBB7_62
; %bb.61:                               ;   in Loop: Header=BB7_15 Depth=1
	s_delay_alu instid0(VALU_DEP_2) | instskip(SKIP_2) | instid1(VALU_DEP_1)
	v_mad_u64_u32 v[6:7], null, v8, s10, v[0:1]
	v_mul_lo_u32 v10, v8, s11
	v_mul_lo_u32 v11, v9, s10
	v_add3_u32 v7, v11, v7, v10
	s_cbranch_execz .LBB7_63
	s_branch .LBB7_64
.LBB7_62:                               ;   in Loop: Header=BB7_15 Depth=1
                                        ; implicit-def: $vgpr6_vgpr7
.LBB7_63:                               ;   in Loop: Header=BB7_15 Depth=1
	s_delay_alu instid0(VALU_DEP_2) | instskip(NEXT) | instid1(VALU_DEP_2)
	v_add_co_u32 v6, vcc_lo, v8, v2
	v_add_co_ci_u32_e32 v7, vcc_lo, v9, v3, vcc_lo
.LBB7_64:                               ;   in Loop: Header=BB7_15 Depth=1
	v_cmp_gt_i64_e32 vcc_lo, s[12:13], v[4:5]
	s_and_b32 s6, s40, vcc_lo
	s_delay_alu instid0(SALU_CYCLE_1)
	s_and_saveexec_b32 s1, s6
	s_cbranch_execz .LBB7_14
; %bb.65:                               ;   in Loop: Header=BB7_15 Depth=1
	s_and_saveexec_b32 s6, s42
	s_delay_alu instid0(SALU_CYCLE_1)
	s_xor_b32 s6, exec_lo, s6
	s_cbranch_execz .LBB7_67
; %bb.66:                               ;   in Loop: Header=BB7_15 Depth=1
	v_lshlrev_b64 v[4:5], 3, v[6:7]
	v_mul_f32_e64 v8, v29, -v13
	s_delay_alu instid0(VALU_DEP_2) | instskip(NEXT) | instid1(VALU_DEP_3)
	v_add_co_u32 v4, vcc_lo, s8, v4
	v_add_co_ci_u32_e32 v5, vcc_lo, s9, v5, vcc_lo
	global_load_b64 v[6:7], v[4:5], off
	v_fmac_f32_e32 v8, v12, v28
	v_mul_f32_e32 v9, v29, v12
                                        ; implicit-def: $vgpr29
	s_waitcnt vmcnt(0)
	s_delay_alu instid0(VALU_DEP_1) | instskip(NEXT) | instid1(VALU_DEP_1)
	v_dual_fmac_f32 v8, v14, v6 :: v_dual_fmac_f32 v9, v13, v28
                                        ; implicit-def: $vgpr28
	v_fma_f32 v8, -v15, v7, v8
	s_delay_alu instid0(VALU_DEP_2) | instskip(NEXT) | instid1(VALU_DEP_1)
	v_fmac_f32_e32 v9, v15, v6
	v_fmac_f32_e32 v9, v14, v7
                                        ; implicit-def: $vgpr6_vgpr7
	global_store_b64 v[4:5], v[8:9], off
.LBB7_67:                               ;   in Loop: Header=BB7_15 Depth=1
	s_and_not1_saveexec_b32 s6, s6
	s_cbranch_execz .LBB7_14
; %bb.68:                               ;   in Loop: Header=BB7_15 Depth=1
	v_lshlrev_b64 v[6:7], 3, v[6:7]
	v_mul_f32_e64 v4, v29, -v13
	v_mul_f32_e32 v5, v29, v12
	s_delay_alu instid0(VALU_DEP_2) | instskip(NEXT) | instid1(VALU_DEP_4)
	v_fmac_f32_e32 v4, v12, v28
	v_add_co_u32 v6, vcc_lo, s8, v6
	s_delay_alu instid0(VALU_DEP_3)
	v_fmac_f32_e32 v5, v13, v28
	v_add_co_ci_u32_e32 v7, vcc_lo, s9, v7, vcc_lo
	global_store_b64 v[6:7], v[4:5], off
	s_branch .LBB7_14
.LBB7_69:
	s_nop 0
	s_sendmsg sendmsg(MSG_DEALLOC_VGPRS)
	s_endpgm
.LBB7_70:
	v_dual_mov_b32 v1, s8 :: v_dual_mov_b32 v2, s9
	flat_load_b32 v12, v[1:2]
	v_cndmask_b32_e64 v1, 0, 1, s3
	v_mov_b32_e32 v13, s9
	s_and_not1_b32 vcc_lo, exec_lo, s3
	s_cbranch_vccnz .LBB7_2
.LBB7_71:
	v_dual_mov_b32 v2, s8 :: v_dual_mov_b32 v3, s9
	flat_load_b32 v13, v[2:3] offset:4
	v_cmp_ne_u32_e32 vcc_lo, 1, v1
	v_mov_b32_e32 v14, s12
	s_cbranch_vccnz .LBB7_3
.LBB7_72:
	v_dual_mov_b32 v2, s12 :: v_dual_mov_b32 v3, s13
	flat_load_b32 v14, v[2:3]
	v_cmp_ne_u32_e32 vcc_lo, 1, v1
	v_mov_b32_e32 v15, s13
	s_cbranch_vccz .LBB7_4
	s_branch .LBB7_5
.LBB7_73:
                                        ; implicit-def: $sgpr26_sgpr27
	s_branch .LBB7_11
	.section	.rodata,"a",@progbits
	.p2align	6, 0x0
	.amdhsa_kernel _ZN9rocsparseL30bellmm_general_blockdim_kernelILi32ELi32E21rocsparse_complex_numIfElS2_S2_S2_EEv20rocsparse_operation_S3_20rocsparse_direction_T2_S5_NS_24const_host_device_scalarIT1_EES5_S5_PKS5_PKT3_PKT4_l16rocsparse_order_S8_PT5_lSH_21rocsparse_index_base_b
		.amdhsa_group_segment_fixed_size 16384
		.amdhsa_private_segment_fixed_size 0
		.amdhsa_kernarg_size 132
		.amdhsa_user_sgpr_count 14
		.amdhsa_user_sgpr_dispatch_ptr 0
		.amdhsa_user_sgpr_queue_ptr 0
		.amdhsa_user_sgpr_kernarg_segment_ptr 1
		.amdhsa_user_sgpr_dispatch_id 0
		.amdhsa_user_sgpr_private_segment_size 0
		.amdhsa_wavefront_size32 1
		.amdhsa_uses_dynamic_stack 0
		.amdhsa_enable_private_segment 0
		.amdhsa_system_sgpr_workgroup_id_x 1
		.amdhsa_system_sgpr_workgroup_id_y 1
		.amdhsa_system_sgpr_workgroup_id_z 0
		.amdhsa_system_sgpr_workgroup_info 0
		.amdhsa_system_vgpr_workitem_id 1
		.amdhsa_next_free_vgpr 56
		.amdhsa_next_free_sgpr 48
		.amdhsa_reserve_vcc 1
		.amdhsa_float_round_mode_32 0
		.amdhsa_float_round_mode_16_64 0
		.amdhsa_float_denorm_mode_32 3
		.amdhsa_float_denorm_mode_16_64 3
		.amdhsa_dx10_clamp 1
		.amdhsa_ieee_mode 1
		.amdhsa_fp16_overflow 0
		.amdhsa_workgroup_processor_mode 1
		.amdhsa_memory_ordered 1
		.amdhsa_forward_progress 0
		.amdhsa_shared_vgpr_count 0
		.amdhsa_exception_fp_ieee_invalid_op 0
		.amdhsa_exception_fp_denorm_src 0
		.amdhsa_exception_fp_ieee_div_zero 0
		.amdhsa_exception_fp_ieee_overflow 0
		.amdhsa_exception_fp_ieee_underflow 0
		.amdhsa_exception_fp_ieee_inexact 0
		.amdhsa_exception_int_div_zero 0
	.end_amdhsa_kernel
	.section	.text._ZN9rocsparseL30bellmm_general_blockdim_kernelILi32ELi32E21rocsparse_complex_numIfElS2_S2_S2_EEv20rocsparse_operation_S3_20rocsparse_direction_T2_S5_NS_24const_host_device_scalarIT1_EES5_S5_PKS5_PKT3_PKT4_l16rocsparse_order_S8_PT5_lSH_21rocsparse_index_base_b,"axG",@progbits,_ZN9rocsparseL30bellmm_general_blockdim_kernelILi32ELi32E21rocsparse_complex_numIfElS2_S2_S2_EEv20rocsparse_operation_S3_20rocsparse_direction_T2_S5_NS_24const_host_device_scalarIT1_EES5_S5_PKS5_PKT3_PKT4_l16rocsparse_order_S8_PT5_lSH_21rocsparse_index_base_b,comdat
.Lfunc_end7:
	.size	_ZN9rocsparseL30bellmm_general_blockdim_kernelILi32ELi32E21rocsparse_complex_numIfElS2_S2_S2_EEv20rocsparse_operation_S3_20rocsparse_direction_T2_S5_NS_24const_host_device_scalarIT1_EES5_S5_PKS5_PKT3_PKT4_l16rocsparse_order_S8_PT5_lSH_21rocsparse_index_base_b, .Lfunc_end7-_ZN9rocsparseL30bellmm_general_blockdim_kernelILi32ELi32E21rocsparse_complex_numIfElS2_S2_S2_EEv20rocsparse_operation_S3_20rocsparse_direction_T2_S5_NS_24const_host_device_scalarIT1_EES5_S5_PKS5_PKT3_PKT4_l16rocsparse_order_S8_PT5_lSH_21rocsparse_index_base_b
                                        ; -- End function
	.section	.AMDGPU.csdata,"",@progbits
; Kernel info:
; codeLenInByte = 3696
; NumSgprs: 50
; NumVgprs: 56
; ScratchSize: 0
; MemoryBound: 0
; FloatMode: 240
; IeeeMode: 1
; LDSByteSize: 16384 bytes/workgroup (compile time only)
; SGPRBlocks: 6
; VGPRBlocks: 6
; NumSGPRsForWavesPerEU: 50
; NumVGPRsForWavesPerEU: 56
; Occupancy: 16
; WaveLimiterHint : 1
; COMPUTE_PGM_RSRC2:SCRATCH_EN: 0
; COMPUTE_PGM_RSRC2:USER_SGPR: 14
; COMPUTE_PGM_RSRC2:TRAP_HANDLER: 0
; COMPUTE_PGM_RSRC2:TGID_X_EN: 1
; COMPUTE_PGM_RSRC2:TGID_Y_EN: 1
; COMPUTE_PGM_RSRC2:TGID_Z_EN: 0
; COMPUTE_PGM_RSRC2:TIDIG_COMP_CNT: 1
	.section	.text._ZN9rocsparseL30bellmm_general_blockdim_kernelILi32ELi32E21rocsparse_complex_numIdEiS2_S2_S2_EEv20rocsparse_operation_S3_20rocsparse_direction_T2_S5_NS_24const_host_device_scalarIT1_EES5_S5_PKS5_PKT3_PKT4_l16rocsparse_order_S8_PT5_lSH_21rocsparse_index_base_b,"axG",@progbits,_ZN9rocsparseL30bellmm_general_blockdim_kernelILi32ELi32E21rocsparse_complex_numIdEiS2_S2_S2_EEv20rocsparse_operation_S3_20rocsparse_direction_T2_S5_NS_24const_host_device_scalarIT1_EES5_S5_PKS5_PKT3_PKT4_l16rocsparse_order_S8_PT5_lSH_21rocsparse_index_base_b,comdat
	.globl	_ZN9rocsparseL30bellmm_general_blockdim_kernelILi32ELi32E21rocsparse_complex_numIdEiS2_S2_S2_EEv20rocsparse_operation_S3_20rocsparse_direction_T2_S5_NS_24const_host_device_scalarIT1_EES5_S5_PKS5_PKT3_PKT4_l16rocsparse_order_S8_PT5_lSH_21rocsparse_index_base_b ; -- Begin function _ZN9rocsparseL30bellmm_general_blockdim_kernelILi32ELi32E21rocsparse_complex_numIdEiS2_S2_S2_EEv20rocsparse_operation_S3_20rocsparse_direction_T2_S5_NS_24const_host_device_scalarIT1_EES5_S5_PKS5_PKT3_PKT4_l16rocsparse_order_S8_PT5_lSH_21rocsparse_index_base_b
	.p2align	8
	.type	_ZN9rocsparseL30bellmm_general_blockdim_kernelILi32ELi32E21rocsparse_complex_numIdEiS2_S2_S2_EEv20rocsparse_operation_S3_20rocsparse_direction_T2_S5_NS_24const_host_device_scalarIT1_EES5_S5_PKS5_PKT3_PKT4_l16rocsparse_order_S8_PT5_lSH_21rocsparse_index_base_b,@function
_ZN9rocsparseL30bellmm_general_blockdim_kernelILi32ELi32E21rocsparse_complex_numIdEiS2_S2_S2_EEv20rocsparse_operation_S3_20rocsparse_direction_T2_S5_NS_24const_host_device_scalarIT1_EES5_S5_PKS5_PKT3_PKT4_l16rocsparse_order_S8_PT5_lSH_21rocsparse_index_base_b: ; @_ZN9rocsparseL30bellmm_general_blockdim_kernelILi32ELi32E21rocsparse_complex_numIdEiS2_S2_S2_EEv20rocsparse_operation_S3_20rocsparse_direction_T2_S5_NS_24const_host_device_scalarIT1_EES5_S5_PKS5_PKT3_PKT4_l16rocsparse_order_S8_PT5_lSH_21rocsparse_index_base_b
; %bb.0:
	s_clause 0x1
	s_load_b128 s[16:19], s[2:3], 0x78
	s_load_b128 s[4:7], s[2:3], 0x18
	s_load_b64 s[12:13], s[0:1], 0x4
	s_mov_b64 s[0:1], src_shared_base
	v_and_b32_e32 v25, 0x3ff, v0
	s_load_b128 s[8:11], s[2:3], 0x58
	v_bfe_u32 v26, v0, 10, 10
	v_bfe_u32 v0, v0, 20, 10
	s_waitcnt lgkmcnt(0)
	s_bitcmp1_b32 s18, 0
	s_cselect_b32 s0, -1, 0
	s_delay_alu instid0(SALU_CYCLE_1) | instskip(SKIP_4) | instid1(SALU_CYCLE_1)
	s_and_b32 vcc_lo, s0, exec_lo
	s_cselect_b32 s18, s1, s5
	s_lshr_b32 s12, s12, 16
	v_dual_mov_b32 v2, s8 :: v_dual_mov_b32 v3, s9
	s_mul_i32 s12, s12, s13
	v_mul_lo_u32 v1, s12, v25
	s_delay_alu instid0(VALU_DEP_1) | instskip(NEXT) | instid1(VALU_DEP_1)
	v_mad_u32_u24 v1, v26, s13, v1
	v_add_lshl_u32 v6, v1, v0, 3
	v_dual_mov_b32 v0, s4 :: v_dual_mov_b32 v5, s18
	s_delay_alu instid0(VALU_DEP_2)
	v_dual_mov_b32 v1, s5 :: v_dual_add_nc_u32 v4, 0xa000, v6
	ds_store_2addr_stride64_b64 v6, v[2:3], v[0:1] offset0:64 offset1:80
	v_add_nc_u32_e32 v0, 0x8000, v6
	v_cndmask_b32_e64 v4, s4, v4, s0
	v_dual_mov_b32 v6, s6 :: v_dual_mov_b32 v7, s7
	s_xor_b32 s6, s0, -1
	flat_load_b64 v[4:5], v[4:5]
	s_cbranch_vccnz .LBB8_2
; %bb.1:
	v_dual_mov_b32 v1, s4 :: v_dual_mov_b32 v2, s5
	flat_load_b64 v[6:7], v[1:2] offset:8
.LBB8_2:
	s_and_b32 s4, s0, exec_lo
	s_cselect_b32 s1, s1, s9
	v_cndmask_b32_e64 v0, s8, v0, s0
	v_dual_mov_b32 v1, s1 :: v_dual_mov_b32 v10, s10
	v_mov_b32_e32 v11, s11
	s_and_not1_b32 vcc_lo, exec_lo, s6
	flat_load_b64 v[8:9], v[0:1]
	s_cbranch_vccnz .LBB8_4
; %bb.3:
	v_dual_mov_b32 v0, s8 :: v_dual_mov_b32 v1, s9
	flat_load_b64 v[10:11], v[0:1] offset:8
.LBB8_4:
	s_waitcnt vmcnt(1) lgkmcnt(1)
	v_cmp_eq_f64_e32 vcc_lo, 0, v[4:5]
	v_cmp_eq_f64_e64 s0, 0, v[6:7]
	s_delay_alu instid0(VALU_DEP_1)
	s_and_b32 s4, vcc_lo, s0
	s_mov_b32 s0, -1
	s_and_saveexec_b32 s1, s4
	s_cbranch_execz .LBB8_6
; %bb.5:
	s_waitcnt vmcnt(0) lgkmcnt(0)
	v_cmp_neq_f64_e32 vcc_lo, 1.0, v[8:9]
	v_cmp_neq_f64_e64 s0, 0, v[10:11]
	s_delay_alu instid0(VALU_DEP_1) | instskip(NEXT) | instid1(SALU_CYCLE_1)
	s_or_b32 s0, vcc_lo, s0
	s_or_not1_b32 s0, s0, exec_lo
.LBB8_6:
	s_or_b32 exec_lo, exec_lo, s1
	s_and_saveexec_b32 s1, s0
	s_cbranch_execz .LBB8_66
; %bb.7:
	s_clause 0x1
	s_load_b128 s[20:23], s[2:3], 0x0
	s_load_b64 s[12:13], s[2:3], 0x28
	s_mov_b32 s18, 0
	s_waitcnt lgkmcnt(0)
	s_cmp_lt_i32 s14, s23
	s_cselect_b32 s29, -1, 0
	s_cmp_ge_i32 s14, s23
	s_cbranch_scc1 .LBB8_9
; %bb.8:
	s_abs_i32 s0, s13
	s_abs_i32 s5, s12
	v_cvt_f32_u32_e32 v0, s0
	s_sub_i32 s4, 0, s0
	s_delay_alu instid0(VALU_DEP_1) | instskip(SKIP_2) | instid1(VALU_DEP_1)
	v_rcp_iflag_f32_e32 v0, v0
	s_waitcnt_depctr 0xfff
	v_mul_f32_e32 v0, 0x4f7ffffe, v0
	v_cvt_u32_f32_e32 v0, v0
	s_delay_alu instid0(VALU_DEP_1) | instskip(NEXT) | instid1(VALU_DEP_1)
	v_readfirstlane_b32 s1, v0
	s_mul_i32 s4, s4, s1
	s_delay_alu instid0(SALU_CYCLE_1) | instskip(NEXT) | instid1(SALU_CYCLE_1)
	s_mul_hi_u32 s4, s1, s4
	s_add_i32 s1, s1, s4
	s_xor_b32 s4, s12, s13
	s_mul_hi_u32 s1, s5, s1
	s_ashr_i32 s4, s4, 31
	s_mul_i32 s6, s1, s0
	s_delay_alu instid0(SALU_CYCLE_1)
	s_sub_i32 s5, s5, s6
	s_add_i32 s6, s1, 1
	s_sub_i32 s7, s5, s0
	s_cmp_ge_u32 s5, s0
	s_cselect_b32 s1, s6, s1
	s_cselect_b32 s5, s7, s5
	s_add_i32 s6, s1, 1
	s_cmp_ge_u32 s5, s0
	s_cselect_b32 s0, s6, s1
	s_delay_alu instid0(SALU_CYCLE_1) | instskip(NEXT) | instid1(SALU_CYCLE_1)
	s_xor_b32 s0, s0, s4
	s_sub_i32 s18, s0, s4
.LBB8_9:
	s_cmp_lt_i32 s13, 1
	s_cbranch_scc1 .LBB8_66
; %bb.10:
	s_clause 0x3
	s_load_b256 s[4:11], s[2:3], 0x30
	s_load_b32 s0, s[2:3], 0x50
	s_load_b128 s[24:27], s[2:3], 0x68
	s_load_b32 s2, s[2:3], 0x10
	s_waitcnt vmcnt(0)
	v_cmp_neq_f64_e32 vcc_lo, 0, v[8:9]
	v_cmp_neq_f64_e64 s1, 0, v[10:11]
	v_lshl_add_u32 v12, s15, 5, v26
	s_cmp_gt_i32 s18, 0
	v_dual_mov_b32 v17, 0 :: v_dual_lshlrev_b32 v14, 5, v26
	s_cselect_b32 s19, -1, 0
	s_delay_alu instid0(VALU_DEP_2) | instskip(SKIP_1) | instid1(VALU_DEP_2)
	v_ashrrev_i32_e32 v13, 31, v12
	s_cmpk_eq_i32 s21, 0x6f
	v_add_lshl_u32 v29, v14, v25, 4
	s_cselect_b32 s3, -1, 0
	v_lshlrev_b32_e32 v33, 4, v25
	v_lshlrev_b64 v[0:1], 4, v[12:13]
	v_lshl_add_u32 v34, v26, 9, 0x4000
	v_add_nc_u32_e32 v30, 0x4000, v29
	s_mul_i32 s12, s14, s13
	s_waitcnt lgkmcnt(0)
	v_mul_lo_u32 v15, v13, s10
	v_mul_lo_u32 v16, v12, s11
	v_mad_u64_u32 v[2:3], null, v12, s10, 0
	s_cmp_lg_u32 s0, 1
	v_add_co_u32 v27, s0, s8, v0
	s_cselect_b32 s30, -1, 0
	s_cmp_lg_u32 s22, 0
	v_add_co_ci_u32_e64 v28, s0, s9, v1, s0
	s_delay_alu instid0(VALU_DEP_3)
	v_add3_u32 v3, v3, v16, v15
	s_cselect_b32 s22, -1, 0
	s_cmpk_eq_i32 s21, 0x71
	v_cmp_gt_i32_e64 s0, s2, v12
	s_cselect_b32 s28, -1, 0
	s_cmpk_lg_i32 s21, 0x71
	v_lshlrev_b64 v[0:1], 4, v[2:3]
	s_cselect_b32 s2, -1, 0
	s_cmpk_lg_i32 s20, 0x71
	v_mul_lo_u32 v2, v13, s26
	v_mul_lo_u32 v3, v12, s27
	v_mad_u64_u32 v[14:15], null, v12, s26, 0
	s_cselect_b32 s31, -1, 0
	s_mov_b32 s15, 0
	s_and_b32 s21, s31, s28
	s_or_b32 s20, s31, s2
	s_xor_b32 s21, s21, -1
	s_or_b32 s28, s31, s28
	v_add_co_u32 v31, s2, s8, v0
	s_cmp_lg_u32 s16, 1
	v_add_co_ci_u32_e64 v32, s2, s9, v1, s2
	v_add3_u32 v15, v15, v3, v2
	s_cselect_b32 s8, -1, 0
	s_xor_b32 s2, s3, s30
	s_and_b32 s9, s29, s0
	s_or_b32 s16, vcc_lo, s1
	s_xor_b32 s29, s2, -1
	s_branch .LBB8_12
.LBB8_11:                               ;   in Loop: Header=BB8_12 Depth=1
	s_or_b32 exec_lo, exec_lo, s1
	s_add_i32 s15, s15, 32
	s_delay_alu instid0(SALU_CYCLE_1)
	s_cmp_lt_i32 s15, s13
	s_cbranch_scc0 .LBB8_66
.LBB8_12:                               ; =>This Loop Header: Depth=1
                                        ;     Child Loop BB8_15 Depth 2
                                        ;       Child Loop BB8_18 Depth 3
                                        ;         Child Loop BB8_49 Depth 4
                                        ;         Child Loop BB8_43 Depth 4
	;; [unrolled: 1-line block ×4, first 2 shown]
	v_dual_mov_b32 v19, 0 :: v_dual_add_nc_u32 v18, s15, v25
	v_mov_b32_e32 v20, 0
	s_and_not1_b32 vcc_lo, exec_lo, s19
	s_delay_alu instid0(VALU_DEP_2) | instskip(NEXT) | instid1(VALU_DEP_2)
	v_cmp_gt_i32_e64 s1, s13, v18
	v_dual_mov_b32 v22, v20 :: v_dual_mov_b32 v21, v19
	s_cbranch_vccnz .LBB8_57
; %bb.13:                               ;   in Loop: Header=BB8_12 Depth=1
	v_mov_b32_e32 v19, 0
	v_mov_b32_e32 v20, 0
	s_mov_b32 s30, 0
	s_delay_alu instid0(VALU_DEP_1)
	v_dual_mov_b32 v22, v20 :: v_dual_mov_b32 v21, v19
	s_branch .LBB8_15
.LBB8_14:                               ;   in Loop: Header=BB8_15 Depth=2
	s_add_i32 s30, s30, 1
	s_delay_alu instid0(SALU_CYCLE_1)
	s_cmp_eq_u32 s30, s18
	s_cbranch_scc1 .LBB8_57
.LBB8_15:                               ;   Parent Loop BB8_12 Depth=1
                                        ; =>  This Loop Header: Depth=2
                                        ;       Child Loop BB8_18 Depth 3
                                        ;         Child Loop BB8_49 Depth 4
                                        ;         Child Loop BB8_43 Depth 4
	;; [unrolled: 1-line block ×4, first 2 shown]
	s_mul_i32 s2, s30, s23
	s_delay_alu instid0(SALU_CYCLE_1) | instskip(NEXT) | instid1(SALU_CYCLE_1)
	s_add_i32 s2, s2, s14
	s_ashr_i32 s3, s2, 31
	s_mul_i32 s31, s2, s13
	s_lshl_b64 s[34:35], s[2:3], 2
	v_add_nc_u32_e32 v0, s31, v18
	s_add_u32 s34, s4, s34
	s_addc_u32 s35, s5, s35
	s_load_b32 s3, s[34:35], 0x0
	s_delay_alu instid0(VALU_DEP_1) | instskip(SKIP_3) | instid1(SALU_CYCLE_1)
	v_mul_lo_u32 v35, v0, s13
	s_mov_b32 s35, 0
	s_waitcnt lgkmcnt(0)
	s_sub_i32 s33, s3, s17
	s_cmp_gt_i32 s33, -1
	s_mul_i32 s33, s33, s13
	s_cselect_b32 s34, -1, 0
	s_branch .LBB8_18
.LBB8_16:                               ;   in Loop: Header=BB8_18 Depth=3
	s_delay_alu instid0(VALU_DEP_1) | instskip(NEXT) | instid1(VALU_DEP_2)
	v_dual_mov_b32 v22, v3 :: v_dual_mov_b32 v21, v2
	v_dual_mov_b32 v20, v1 :: v_dual_mov_b32 v19, v0
.LBB8_17:                               ;   in Loop: Header=BB8_18 Depth=3
	s_add_i32 s35, s35, 32
	s_delay_alu instid0(SALU_CYCLE_1)
	s_cmp_ge_i32 s35, s13
	s_barrier
	buffer_gl0_inv
	s_cbranch_scc1 .LBB8_14
.LBB8_18:                               ;   Parent Loop BB8_12 Depth=1
                                        ;     Parent Loop BB8_15 Depth=2
                                        ; =>    This Loop Header: Depth=3
                                        ;         Child Loop BB8_49 Depth 4
                                        ;         Child Loop BB8_43 Depth 4
	;; [unrolled: 1-line block ×4, first 2 shown]
	v_add_nc_u32_e32 v0, s35, v25
	s_delay_alu instid0(VALU_DEP_1)
	v_cmp_gt_i32_e32 vcc_lo, s13, v0
	s_and_b32 s2, s0, vcc_lo
	s_and_b32 vcc_lo, exec_lo, s29
	s_and_b32 s37, s2, s34
	s_cbranch_vccz .LBB8_22
; %bb.19:                               ;   in Loop: Header=BB8_18 Depth=3
	s_mov_b32 s38, 0
	s_mov_b32 s36, 0
                                        ; implicit-def: $vgpr23_vgpr24
	s_and_saveexec_b32 s2, s37
	s_delay_alu instid0(SALU_CYCLE_1)
	s_xor_b32 s2, exec_lo, s2
; %bb.20:                               ;   in Loop: Header=BB8_18 Depth=3
	v_add_nc_u32_e32 v3, s33, v0
	s_mov_b32 s36, exec_lo
	s_delay_alu instid0(VALU_DEP_1) | instskip(NEXT) | instid1(VALU_DEP_1)
	v_mad_u64_u32 v[1:2], null, v3, s10, 0
	v_mad_u64_u32 v[23:24], null, v3, s11, v[2:3]
	s_delay_alu instid0(VALU_DEP_1) | instskip(NEXT) | instid1(VALU_DEP_1)
	v_mov_b32_e32 v2, v23
	v_lshlrev_b64 v[1:2], 4, v[1:2]
	s_delay_alu instid0(VALU_DEP_1) | instskip(NEXT) | instid1(VALU_DEP_2)
	v_add_co_u32 v23, vcc_lo, v27, v1
	v_add_co_ci_u32_e32 v24, vcc_lo, v28, v2, vcc_lo
; %bb.21:                               ;   in Loop: Header=BB8_18 Depth=3
	s_or_b32 exec_lo, exec_lo, s2
	s_mov_b64 s[2:3], 0
	s_and_b32 vcc_lo, exec_lo, s38
	s_cbranch_vccnz .LBB8_23
	s_branch .LBB8_26
.LBB8_22:                               ;   in Loop: Header=BB8_18 Depth=3
	s_mov_b32 s36, 0
                                        ; implicit-def: $vgpr23_vgpr24
                                        ; implicit-def: $sgpr2_sgpr3
	s_cbranch_execz .LBB8_26
.LBB8_23:                               ;   in Loop: Header=BB8_18 Depth=3
                                        ; implicit-def: $vgpr23_vgpr24
	s_and_saveexec_b32 s2, s37
; %bb.24:                               ;   in Loop: Header=BB8_18 Depth=3
	v_add_nc_u32_e32 v16, s33, v0
	s_or_b32 s36, s36, exec_lo
	s_delay_alu instid0(VALU_DEP_1) | instskip(NEXT) | instid1(VALU_DEP_1)
	v_lshlrev_b64 v[0:1], 4, v[16:17]
	v_add_co_u32 v23, vcc_lo, v31, v0
	s_delay_alu instid0(VALU_DEP_2)
	v_add_co_ci_u32_e32 v24, vcc_lo, v32, v1, vcc_lo
; %bb.25:                               ;   in Loop: Header=BB8_18 Depth=3
	s_or_b32 exec_lo, exec_lo, s2
	s_mov_b64 s[2:3], 0
.LBB8_26:                               ;   in Loop: Header=BB8_18 Depth=3
	s_delay_alu instid0(SALU_CYCLE_1)
	v_dual_mov_b32 v0, s2 :: v_dual_mov_b32 v1, s3
	v_dual_mov_b32 v2, s2 :: v_dual_mov_b32 v3, s3
	s_and_saveexec_b32 s2, s36
	s_cbranch_execz .LBB8_28
; %bb.27:                               ;   in Loop: Header=BB8_18 Depth=3
	global_load_b128 v[0:3], v[23:24], off
.LBB8_28:                               ;   in Loop: Header=BB8_18 Depth=3
	s_or_b32 exec_lo, exec_lo, s2
	v_add_nc_u32_e32 v16, s35, v26
	s_waitcnt vmcnt(0)
	ds_store_b128 v30, v[0:3]
	v_cmp_gt_i32_e32 vcc_lo, s13, v16
	s_and_b32 s2, s1, vcc_lo
	s_and_b32 vcc_lo, exec_lo, s22
	s_and_b32 s37, s2, s34
	s_cbranch_vccz .LBB8_32
; %bb.29:                               ;   in Loop: Header=BB8_18 Depth=3
	s_mov_b32 s38, 0
	s_mov_b32 s36, 0
                                        ; implicit-def: $vgpr23
	s_and_saveexec_b32 s2, s37
	s_delay_alu instid0(SALU_CYCLE_1)
	s_xor_b32 s2, exec_lo, s2
; %bb.30:                               ;   in Loop: Header=BB8_18 Depth=3
	v_add_nc_u32_e32 v0, s31, v16
	s_mov_b32 s36, exec_lo
	s_delay_alu instid0(VALU_DEP_1)
	v_mad_u64_u32 v[23:24], null, v0, s13, v[18:19]
; %bb.31:                               ;   in Loop: Header=BB8_18 Depth=3
	s_or_b32 exec_lo, exec_lo, s2
	s_mov_b64 s[2:3], 0
	s_and_b32 vcc_lo, exec_lo, s38
	s_cbranch_vccnz .LBB8_33
	s_branch .LBB8_36
.LBB8_32:                               ;   in Loop: Header=BB8_18 Depth=3
	s_mov_b32 s36, 0
                                        ; implicit-def: $vgpr23
                                        ; implicit-def: $sgpr2_sgpr3
	s_cbranch_execz .LBB8_36
.LBB8_33:                               ;   in Loop: Header=BB8_18 Depth=3
                                        ; implicit-def: $vgpr23
	s_and_saveexec_b32 s2, s37
; %bb.34:                               ;   in Loop: Header=BB8_18 Depth=3
	v_add_nc_u32_e32 v23, v16, v35
	s_or_b32 s36, s36, exec_lo
; %bb.35:                               ;   in Loop: Header=BB8_18 Depth=3
	s_or_b32 exec_lo, exec_lo, s2
	s_mov_b64 s[2:3], 0
.LBB8_36:                               ;   in Loop: Header=BB8_18 Depth=3
	s_delay_alu instid0(SALU_CYCLE_1)
	v_dual_mov_b32 v0, s2 :: v_dual_mov_b32 v1, s3
	v_dual_mov_b32 v2, s2 :: v_dual_mov_b32 v3, s3
	s_and_saveexec_b32 s2, s36
	s_cbranch_execz .LBB8_38
; %bb.37:                               ;   in Loop: Header=BB8_18 Depth=3
	v_ashrrev_i32_e32 v24, 31, v23
	s_delay_alu instid0(VALU_DEP_1) | instskip(NEXT) | instid1(VALU_DEP_1)
	v_lshlrev_b64 v[0:1], 4, v[23:24]
	v_add_co_u32 v0, vcc_lo, s6, v0
	s_delay_alu instid0(VALU_DEP_2)
	v_add_co_ci_u32_e32 v1, vcc_lo, s7, v1, vcc_lo
	global_load_b128 v[0:3], v[0:1], off
.LBB8_38:                               ;   in Loop: Header=BB8_18 Depth=3
	s_or_b32 exec_lo, exec_lo, s2
	s_delay_alu instid0(SALU_CYCLE_1)
	s_and_not1_b32 vcc_lo, exec_lo, s34
	s_waitcnt vmcnt(0)
	ds_store_b128 v29, v[0:3]
	s_waitcnt lgkmcnt(0)
	s_waitcnt_vscnt null, 0x0
	s_barrier
	buffer_gl0_inv
	s_cbranch_vccnz .LBB8_17
; %bb.39:                               ;   in Loop: Header=BB8_18 Depth=3
	s_and_b32 vcc_lo, exec_lo, s20
	s_cbranch_vccz .LBB8_45
; %bb.40:                               ;   in Loop: Header=BB8_18 Depth=3
	s_and_b32 vcc_lo, exec_lo, s21
	s_cbranch_vccz .LBB8_46
; %bb.41:                               ;   in Loop: Header=BB8_18 Depth=3
	s_and_not1_b32 vcc_lo, exec_lo, s28
	s_cbranch_vccnz .LBB8_47
; %bb.42:                               ;   in Loop: Header=BB8_18 Depth=3
	v_mov_b32_e32 v0, v19
	v_dual_mov_b32 v2, v21 :: v_dual_mov_b32 v3, v22
	v_dual_mov_b32 v16, v33 :: v_dual_mov_b32 v1, v20
	s_mov_b32 s2, 0
.LBB8_43:                               ;   Parent Loop BB8_12 Depth=1
                                        ;     Parent Loop BB8_15 Depth=2
                                        ;       Parent Loop BB8_18 Depth=3
                                        ; =>      This Inner Loop Header: Depth=4
	s_delay_alu instid0(SALU_CYCLE_1)
	v_add_nc_u32_e32 v52, s2, v34
	s_add_i32 s2, s2, 64
	ds_load_b128 v[36:39], v16
	ds_load_b128 v[40:43], v52
	ds_load_b128 v[44:47], v16 offset:512
	ds_load_b128 v[48:51], v52 offset:16
	s_cmpk_lg_i32 s2, 0x200
	s_waitcnt lgkmcnt(2)
	v_fma_f64 v[2:3], v[36:37], v[40:41], v[2:3]
	v_fma_f64 v[0:1], v[38:39], v[40:41], v[0:1]
	s_delay_alu instid0(VALU_DEP_2) | instskip(NEXT) | instid1(VALU_DEP_2)
	v_fma_f64 v[2:3], -v[38:39], v[42:43], v[2:3]
	v_fma_f64 v[0:1], v[36:37], v[42:43], v[0:1]
	s_waitcnt lgkmcnt(0)
	s_delay_alu instid0(VALU_DEP_2) | instskip(NEXT) | instid1(VALU_DEP_2)
	v_fma_f64 v[2:3], v[44:45], v[48:49], v[2:3]
	v_fma_f64 v[0:1], v[46:47], v[48:49], v[0:1]
	s_delay_alu instid0(VALU_DEP_2) | instskip(NEXT) | instid1(VALU_DEP_2)
	v_fma_f64 v[23:24], -v[46:47], v[50:51], v[2:3]
	v_fma_f64 v[48:49], v[44:45], v[50:51], v[0:1]
	ds_load_b128 v[0:3], v16 offset:1024
	ds_load_b128 v[36:39], v52 offset:32
	;; [unrolled: 1-line block ×4, first 2 shown]
	v_add_nc_u32_e32 v16, 0x800, v16
	s_waitcnt lgkmcnt(2)
	v_fma_f64 v[23:24], v[0:1], v[36:37], v[23:24]
	v_fma_f64 v[36:37], v[2:3], v[36:37], v[48:49]
	s_delay_alu instid0(VALU_DEP_2) | instskip(NEXT) | instid1(VALU_DEP_2)
	v_fma_f64 v[2:3], -v[2:3], v[38:39], v[23:24]
	v_fma_f64 v[0:1], v[0:1], v[38:39], v[36:37]
	s_waitcnt lgkmcnt(0)
	s_delay_alu instid0(VALU_DEP_2) | instskip(NEXT) | instid1(VALU_DEP_2)
	v_fma_f64 v[2:3], v[40:41], v[44:45], v[2:3]
	v_fma_f64 v[0:1], v[42:43], v[44:45], v[0:1]
	s_delay_alu instid0(VALU_DEP_2) | instskip(NEXT) | instid1(VALU_DEP_2)
	v_fma_f64 v[2:3], -v[42:43], v[46:47], v[2:3]
	v_fma_f64 v[0:1], v[40:41], v[46:47], v[0:1]
	s_cbranch_scc1 .LBB8_43
; %bb.44:                               ;   in Loop: Header=BB8_18 Depth=3
	s_branch .LBB8_50
.LBB8_45:                               ;   in Loop: Header=BB8_18 Depth=3
                                        ; implicit-def: $vgpr0_vgpr1
                                        ; implicit-def: $vgpr2_vgpr3
	s_branch .LBB8_54
.LBB8_46:                               ;   in Loop: Header=BB8_18 Depth=3
                                        ; implicit-def: $vgpr0_vgpr1
                                        ; implicit-def: $vgpr2_vgpr3
	s_branch .LBB8_51
.LBB8_47:                               ;   in Loop: Header=BB8_18 Depth=3
                                        ; implicit-def: $vgpr0_vgpr1
                                        ; implicit-def: $vgpr2_vgpr3
	s_cbranch_execz .LBB8_50
; %bb.48:                               ;   in Loop: Header=BB8_18 Depth=3
	v_mov_b32_e32 v0, v19
	v_dual_mov_b32 v2, v21 :: v_dual_mov_b32 v3, v22
	v_dual_mov_b32 v16, v33 :: v_dual_mov_b32 v1, v20
	s_mov_b32 s2, 0
.LBB8_49:                               ;   Parent Loop BB8_12 Depth=1
                                        ;     Parent Loop BB8_15 Depth=2
                                        ;       Parent Loop BB8_18 Depth=3
                                        ; =>      This Inner Loop Header: Depth=4
	s_delay_alu instid0(SALU_CYCLE_1)
	v_add_nc_u32_e32 v52, s2, v34
	s_add_i32 s2, s2, 64
	ds_load_b128 v[36:39], v16
	ds_load_b128 v[40:43], v52
	ds_load_b128 v[44:47], v16 offset:512
	ds_load_b128 v[48:51], v52 offset:16
	s_cmpk_eq_i32 s2, 0x200
	s_waitcnt lgkmcnt(2)
	v_fma_f64 v[2:3], v[36:37], v[40:41], v[2:3]
	v_fma_f64 v[0:1], -v[38:39], v[40:41], v[0:1]
	s_delay_alu instid0(VALU_DEP_2) | instskip(NEXT) | instid1(VALU_DEP_2)
	v_fma_f64 v[2:3], v[38:39], v[42:43], v[2:3]
	v_fma_f64 v[0:1], v[36:37], v[42:43], v[0:1]
	s_waitcnt lgkmcnt(0)
	s_delay_alu instid0(VALU_DEP_2) | instskip(NEXT) | instid1(VALU_DEP_2)
	v_fma_f64 v[2:3], v[44:45], v[48:49], v[2:3]
	v_fma_f64 v[0:1], -v[46:47], v[48:49], v[0:1]
	s_delay_alu instid0(VALU_DEP_2) | instskip(NEXT) | instid1(VALU_DEP_2)
	v_fma_f64 v[23:24], v[46:47], v[50:51], v[2:3]
	v_fma_f64 v[48:49], v[44:45], v[50:51], v[0:1]
	ds_load_b128 v[0:3], v16 offset:1024
	ds_load_b128 v[36:39], v52 offset:32
	;; [unrolled: 1-line block ×4, first 2 shown]
	v_add_nc_u32_e32 v16, 0x800, v16
	s_waitcnt lgkmcnt(2)
	v_fma_f64 v[23:24], v[0:1], v[36:37], v[23:24]
	v_fma_f64 v[36:37], -v[2:3], v[36:37], v[48:49]
	s_delay_alu instid0(VALU_DEP_2) | instskip(NEXT) | instid1(VALU_DEP_2)
	v_fma_f64 v[2:3], v[2:3], v[38:39], v[23:24]
	v_fma_f64 v[0:1], v[0:1], v[38:39], v[36:37]
	s_waitcnt lgkmcnt(0)
	s_delay_alu instid0(VALU_DEP_2) | instskip(NEXT) | instid1(VALU_DEP_2)
	v_fma_f64 v[2:3], v[40:41], v[44:45], v[2:3]
	v_fma_f64 v[0:1], -v[42:43], v[44:45], v[0:1]
	s_delay_alu instid0(VALU_DEP_2) | instskip(NEXT) | instid1(VALU_DEP_2)
	v_fma_f64 v[2:3], v[42:43], v[46:47], v[2:3]
	v_fma_f64 v[0:1], v[40:41], v[46:47], v[0:1]
	s_cbranch_scc0 .LBB8_49
.LBB8_50:                               ;   in Loop: Header=BB8_18 Depth=3
	s_cbranch_execnz .LBB8_53
.LBB8_51:                               ;   in Loop: Header=BB8_18 Depth=3
	v_mov_b32_e32 v0, v19
	v_dual_mov_b32 v2, v21 :: v_dual_mov_b32 v3, v22
	v_dual_mov_b32 v16, v33 :: v_dual_mov_b32 v1, v20
	s_mov_b32 s2, 0
.LBB8_52:                               ;   Parent Loop BB8_12 Depth=1
                                        ;     Parent Loop BB8_15 Depth=2
                                        ;       Parent Loop BB8_18 Depth=3
                                        ; =>      This Inner Loop Header: Depth=4
	s_delay_alu instid0(SALU_CYCLE_1)
	v_add_nc_u32_e32 v52, s2, v34
	s_add_i32 s2, s2, 64
	ds_load_b128 v[36:39], v16
	ds_load_b128 v[40:43], v52
	ds_load_b128 v[44:47], v16 offset:512
	ds_load_b128 v[48:51], v52 offset:16
	s_cmpk_eq_i32 s2, 0x200
	s_waitcnt lgkmcnt(2)
	v_fma_f64 v[2:3], v[36:37], v[40:41], v[2:3]
	v_fma_f64 v[0:1], v[38:39], v[40:41], v[0:1]
	s_delay_alu instid0(VALU_DEP_2) | instskip(NEXT) | instid1(VALU_DEP_2)
	v_fma_f64 v[2:3], v[38:39], v[42:43], v[2:3]
	v_fma_f64 v[0:1], v[36:37], -v[42:43], v[0:1]
	s_waitcnt lgkmcnt(0)
	s_delay_alu instid0(VALU_DEP_2) | instskip(NEXT) | instid1(VALU_DEP_2)
	v_fma_f64 v[2:3], v[44:45], v[48:49], v[2:3]
	v_fma_f64 v[0:1], v[46:47], v[48:49], v[0:1]
	s_delay_alu instid0(VALU_DEP_2) | instskip(NEXT) | instid1(VALU_DEP_2)
	v_fma_f64 v[23:24], v[46:47], v[50:51], v[2:3]
	v_fma_f64 v[48:49], v[44:45], -v[50:51], v[0:1]
	ds_load_b128 v[0:3], v16 offset:1024
	ds_load_b128 v[36:39], v52 offset:32
	;; [unrolled: 1-line block ×4, first 2 shown]
	v_add_nc_u32_e32 v16, 0x800, v16
	s_waitcnt lgkmcnt(2)
	v_fma_f64 v[23:24], v[0:1], v[36:37], v[23:24]
	v_fma_f64 v[36:37], v[2:3], v[36:37], v[48:49]
	s_delay_alu instid0(VALU_DEP_2) | instskip(NEXT) | instid1(VALU_DEP_2)
	v_fma_f64 v[2:3], v[2:3], v[38:39], v[23:24]
	v_fma_f64 v[0:1], v[0:1], -v[38:39], v[36:37]
	s_waitcnt lgkmcnt(0)
	s_delay_alu instid0(VALU_DEP_2) | instskip(NEXT) | instid1(VALU_DEP_2)
	v_fma_f64 v[2:3], v[40:41], v[44:45], v[2:3]
	v_fma_f64 v[0:1], v[42:43], v[44:45], v[0:1]
	s_delay_alu instid0(VALU_DEP_2) | instskip(NEXT) | instid1(VALU_DEP_2)
	v_fma_f64 v[2:3], v[42:43], v[46:47], v[2:3]
	v_fma_f64 v[0:1], v[40:41], -v[46:47], v[0:1]
	s_cbranch_scc0 .LBB8_52
.LBB8_53:                               ;   in Loop: Header=BB8_18 Depth=3
	s_cbranch_execnz .LBB8_16
.LBB8_54:                               ;   in Loop: Header=BB8_18 Depth=3
	v_mov_b32_e32 v0, v33
	s_mov_b32 s2, 0
.LBB8_55:                               ;   Parent Loop BB8_12 Depth=1
                                        ;     Parent Loop BB8_15 Depth=2
                                        ;       Parent Loop BB8_18 Depth=3
                                        ; =>      This Inner Loop Header: Depth=4
	s_delay_alu instid0(SALU_CYCLE_1)
	v_add_nc_u32_e32 v3, s2, v34
	s_add_i32 s2, s2, 64
	ds_load_b128 v[36:39], v0
	ds_load_b128 v[40:43], v3
	ds_load_b128 v[44:47], v0 offset:512
	ds_load_b128 v[48:51], v3 offset:16
	s_cmpk_eq_i32 s2, 0x200
	s_waitcnt lgkmcnt(2)
	v_fma_f64 v[1:2], v[36:37], v[40:41], v[21:22]
	v_fma_f64 v[19:20], -v[38:39], v[40:41], v[19:20]
	s_delay_alu instid0(VALU_DEP_2) | instskip(NEXT) | instid1(VALU_DEP_2)
	v_fma_f64 v[1:2], v[38:39], -v[42:43], v[1:2]
	v_fma_f64 v[19:20], v[36:37], -v[42:43], v[19:20]
	s_waitcnt lgkmcnt(0)
	s_delay_alu instid0(VALU_DEP_2) | instskip(NEXT) | instid1(VALU_DEP_2)
	v_fma_f64 v[1:2], v[44:45], v[48:49], v[1:2]
	v_fma_f64 v[19:20], -v[46:47], v[48:49], v[19:20]
	s_delay_alu instid0(VALU_DEP_2) | instskip(NEXT) | instid1(VALU_DEP_2)
	v_fma_f64 v[1:2], v[46:47], -v[50:51], v[1:2]
	v_fma_f64 v[23:24], v[44:45], -v[50:51], v[19:20]
	ds_load_b128 v[19:22], v0 offset:1024
	ds_load_b128 v[36:39], v3 offset:32
	;; [unrolled: 1-line block ×4, first 2 shown]
	v_add_nc_u32_e32 v0, 0x800, v0
	s_waitcnt lgkmcnt(2)
	v_fma_f64 v[1:2], v[19:20], v[36:37], v[1:2]
	v_fma_f64 v[23:24], -v[21:22], v[36:37], v[23:24]
	s_delay_alu instid0(VALU_DEP_2) | instskip(NEXT) | instid1(VALU_DEP_2)
	v_fma_f64 v[1:2], v[21:22], -v[38:39], v[1:2]
	v_fma_f64 v[19:20], v[19:20], -v[38:39], v[23:24]
	s_waitcnt lgkmcnt(0)
	s_delay_alu instid0(VALU_DEP_2) | instskip(NEXT) | instid1(VALU_DEP_2)
	v_fma_f64 v[1:2], v[40:41], v[44:45], v[1:2]
	v_fma_f64 v[19:20], -v[42:43], v[44:45], v[19:20]
	s_delay_alu instid0(VALU_DEP_2) | instskip(NEXT) | instid1(VALU_DEP_2)
	v_fma_f64 v[21:22], v[42:43], -v[46:47], v[1:2]
	v_fma_f64 v[19:20], v[40:41], -v[46:47], v[19:20]
	s_cbranch_scc0 .LBB8_55
; %bb.56:                               ;   in Loop: Header=BB8_18 Depth=3
	s_delay_alu instid0(VALU_DEP_1) | instskip(NEXT) | instid1(VALU_DEP_3)
	v_dual_mov_b32 v0, v19 :: v_dual_mov_b32 v1, v20
	v_dual_mov_b32 v2, v21 :: v_dual_mov_b32 v3, v22
	s_branch .LBB8_16
.LBB8_57:                               ;   in Loop: Header=BB8_12 Depth=1
	v_add_nc_u32_e32 v2, s12, v18
	s_and_b32 vcc_lo, exec_lo, s8
	s_delay_alu instid0(VALU_DEP_1)
	v_ashrrev_i32_e32 v3, 31, v2
	s_cbranch_vccz .LBB8_59
; %bb.58:                               ;   in Loop: Header=BB8_12 Depth=1
	v_mad_u64_u32 v[0:1], null, v2, s26, v[12:13]
	v_mul_lo_u32 v16, v2, s27
	s_delay_alu instid0(VALU_DEP_3) | instskip(NEXT) | instid1(VALU_DEP_1)
	v_mul_lo_u32 v23, v3, s26
	v_add3_u32 v1, v23, v1, v16
	s_cbranch_execz .LBB8_60
	s_branch .LBB8_61
.LBB8_59:                               ;   in Loop: Header=BB8_12 Depth=1
                                        ; implicit-def: $vgpr0_vgpr1
.LBB8_60:                               ;   in Loop: Header=BB8_12 Depth=1
	v_add_co_u32 v0, vcc_lo, v14, v2
	s_delay_alu instid0(VALU_DEP_2)
	v_add_co_ci_u32_e32 v1, vcc_lo, v15, v3, vcc_lo
.LBB8_61:                               ;   in Loop: Header=BB8_12 Depth=1
	v_cmp_gt_i32_e32 vcc_lo, s13, v18
	s_and_b32 s2, s9, vcc_lo
	s_delay_alu instid0(SALU_CYCLE_1)
	s_and_saveexec_b32 s1, s2
	s_cbranch_execz .LBB8_11
; %bb.62:                               ;   in Loop: Header=BB8_12 Depth=1
	s_and_saveexec_b32 s2, s16
	s_delay_alu instid0(SALU_CYCLE_1)
	s_xor_b32 s2, exec_lo, s2
	s_cbranch_execz .LBB8_64
; %bb.63:                               ;   in Loop: Header=BB8_12 Depth=1
	v_lshlrev_b64 v[0:1], 4, v[0:1]
	v_mul_f64 v[35:36], v[19:20], -v[6:7]
	v_mul_f64 v[18:19], v[4:5], v[19:20]
	s_delay_alu instid0(VALU_DEP_3) | instskip(NEXT) | instid1(VALU_DEP_4)
	v_add_co_u32 v23, vcc_lo, s24, v0
	v_add_co_ci_u32_e32 v24, vcc_lo, s25, v1, vcc_lo
	global_load_b128 v[0:3], v[23:24], off
	v_fma_f64 v[35:36], v[4:5], v[21:22], v[35:36]
	v_fma_f64 v[18:19], v[6:7], v[21:22], v[18:19]
	s_waitcnt vmcnt(0)
	s_delay_alu instid0(VALU_DEP_2) | instskip(NEXT) | instid1(VALU_DEP_2)
	v_fma_f64 v[20:21], v[8:9], v[0:1], v[35:36]
	v_fma_f64 v[18:19], v[10:11], v[0:1], v[18:19]
	s_delay_alu instid0(VALU_DEP_2) | instskip(NEXT) | instid1(VALU_DEP_2)
	v_fma_f64 v[0:1], -v[10:11], v[2:3], v[20:21]
	v_fma_f64 v[2:3], v[8:9], v[2:3], v[18:19]
                                        ; implicit-def: $vgpr19_vgpr20
                                        ; implicit-def: $vgpr21_vgpr22
	global_store_b128 v[23:24], v[0:3], off
                                        ; implicit-def: $vgpr0_vgpr1
.LBB8_64:                               ;   in Loop: Header=BB8_12 Depth=1
	s_and_not1_saveexec_b32 s2, s2
	s_cbranch_execz .LBB8_11
; %bb.65:                               ;   in Loop: Header=BB8_12 Depth=1
	v_mul_f64 v[2:3], v[19:20], -v[6:7]
	v_mul_f64 v[23:24], v[4:5], v[19:20]
	v_lshlrev_b64 v[0:1], 4, v[0:1]
	s_delay_alu instid0(VALU_DEP_1) | instskip(NEXT) | instid1(VALU_DEP_2)
	v_add_co_u32 v0, vcc_lo, s24, v0
	v_add_co_ci_u32_e32 v1, vcc_lo, s25, v1, vcc_lo
	v_fma_f64 v[18:19], v[4:5], v[21:22], v[2:3]
	v_fma_f64 v[20:21], v[6:7], v[21:22], v[23:24]
	global_store_b128 v[0:1], v[18:21], off
	s_branch .LBB8_11
.LBB8_66:
	s_nop 0
	s_sendmsg sendmsg(MSG_DEALLOC_VGPRS)
	s_endpgm
	.section	.rodata,"a",@progbits
	.p2align	6, 0x0
	.amdhsa_kernel _ZN9rocsparseL30bellmm_general_blockdim_kernelILi32ELi32E21rocsparse_complex_numIdEiS2_S2_S2_EEv20rocsparse_operation_S3_20rocsparse_direction_T2_S5_NS_24const_host_device_scalarIT1_EES5_S5_PKS5_PKT3_PKT4_l16rocsparse_order_S8_PT5_lSH_21rocsparse_index_base_b
		.amdhsa_group_segment_fixed_size 49152
		.amdhsa_private_segment_fixed_size 0
		.amdhsa_kernarg_size 132
		.amdhsa_user_sgpr_count 14
		.amdhsa_user_sgpr_dispatch_ptr 1
		.amdhsa_user_sgpr_queue_ptr 0
		.amdhsa_user_sgpr_kernarg_segment_ptr 1
		.amdhsa_user_sgpr_dispatch_id 0
		.amdhsa_user_sgpr_private_segment_size 0
		.amdhsa_wavefront_size32 1
		.amdhsa_uses_dynamic_stack 0
		.amdhsa_enable_private_segment 0
		.amdhsa_system_sgpr_workgroup_id_x 1
		.amdhsa_system_sgpr_workgroup_id_y 1
		.amdhsa_system_sgpr_workgroup_id_z 0
		.amdhsa_system_sgpr_workgroup_info 0
		.amdhsa_system_vgpr_workitem_id 2
		.amdhsa_next_free_vgpr 53
		.amdhsa_next_free_sgpr 39
		.amdhsa_reserve_vcc 1
		.amdhsa_float_round_mode_32 0
		.amdhsa_float_round_mode_16_64 0
		.amdhsa_float_denorm_mode_32 3
		.amdhsa_float_denorm_mode_16_64 3
		.amdhsa_dx10_clamp 1
		.amdhsa_ieee_mode 1
		.amdhsa_fp16_overflow 0
		.amdhsa_workgroup_processor_mode 1
		.amdhsa_memory_ordered 1
		.amdhsa_forward_progress 0
		.amdhsa_shared_vgpr_count 0
		.amdhsa_exception_fp_ieee_invalid_op 0
		.amdhsa_exception_fp_denorm_src 0
		.amdhsa_exception_fp_ieee_div_zero 0
		.amdhsa_exception_fp_ieee_overflow 0
		.amdhsa_exception_fp_ieee_underflow 0
		.amdhsa_exception_fp_ieee_inexact 0
		.amdhsa_exception_int_div_zero 0
	.end_amdhsa_kernel
	.section	.text._ZN9rocsparseL30bellmm_general_blockdim_kernelILi32ELi32E21rocsparse_complex_numIdEiS2_S2_S2_EEv20rocsparse_operation_S3_20rocsparse_direction_T2_S5_NS_24const_host_device_scalarIT1_EES5_S5_PKS5_PKT3_PKT4_l16rocsparse_order_S8_PT5_lSH_21rocsparse_index_base_b,"axG",@progbits,_ZN9rocsparseL30bellmm_general_blockdim_kernelILi32ELi32E21rocsparse_complex_numIdEiS2_S2_S2_EEv20rocsparse_operation_S3_20rocsparse_direction_T2_S5_NS_24const_host_device_scalarIT1_EES5_S5_PKS5_PKT3_PKT4_l16rocsparse_order_S8_PT5_lSH_21rocsparse_index_base_b,comdat
.Lfunc_end8:
	.size	_ZN9rocsparseL30bellmm_general_blockdim_kernelILi32ELi32E21rocsparse_complex_numIdEiS2_S2_S2_EEv20rocsparse_operation_S3_20rocsparse_direction_T2_S5_NS_24const_host_device_scalarIT1_EES5_S5_PKS5_PKT3_PKT4_l16rocsparse_order_S8_PT5_lSH_21rocsparse_index_base_b, .Lfunc_end8-_ZN9rocsparseL30bellmm_general_blockdim_kernelILi32ELi32E21rocsparse_complex_numIdEiS2_S2_S2_EEv20rocsparse_operation_S3_20rocsparse_direction_T2_S5_NS_24const_host_device_scalarIT1_EES5_S5_PKS5_PKT3_PKT4_l16rocsparse_order_S8_PT5_lSH_21rocsparse_index_base_b
                                        ; -- End function
	.section	.AMDGPU.csdata,"",@progbits
; Kernel info:
; codeLenInByte = 3096
; NumSgprs: 41
; NumVgprs: 53
; ScratchSize: 0
; MemoryBound: 1
; FloatMode: 240
; IeeeMode: 1
; LDSByteSize: 49152 bytes/workgroup (compile time only)
; SGPRBlocks: 5
; VGPRBlocks: 6
; NumSGPRsForWavesPerEU: 41
; NumVGPRsForWavesPerEU: 53
; Occupancy: 16
; WaveLimiterHint : 0
; COMPUTE_PGM_RSRC2:SCRATCH_EN: 0
; COMPUTE_PGM_RSRC2:USER_SGPR: 14
; COMPUTE_PGM_RSRC2:TRAP_HANDLER: 0
; COMPUTE_PGM_RSRC2:TGID_X_EN: 1
; COMPUTE_PGM_RSRC2:TGID_Y_EN: 1
; COMPUTE_PGM_RSRC2:TGID_Z_EN: 0
; COMPUTE_PGM_RSRC2:TIDIG_COMP_CNT: 2
	.section	.text._ZN9rocsparseL30bellmm_general_blockdim_kernelILi32ELi32E21rocsparse_complex_numIdElS2_S2_S2_EEv20rocsparse_operation_S3_20rocsparse_direction_T2_S5_NS_24const_host_device_scalarIT1_EES5_S5_PKS5_PKT3_PKT4_l16rocsparse_order_S8_PT5_lSH_21rocsparse_index_base_b,"axG",@progbits,_ZN9rocsparseL30bellmm_general_blockdim_kernelILi32ELi32E21rocsparse_complex_numIdElS2_S2_S2_EEv20rocsparse_operation_S3_20rocsparse_direction_T2_S5_NS_24const_host_device_scalarIT1_EES5_S5_PKS5_PKT3_PKT4_l16rocsparse_order_S8_PT5_lSH_21rocsparse_index_base_b,comdat
	.globl	_ZN9rocsparseL30bellmm_general_blockdim_kernelILi32ELi32E21rocsparse_complex_numIdElS2_S2_S2_EEv20rocsparse_operation_S3_20rocsparse_direction_T2_S5_NS_24const_host_device_scalarIT1_EES5_S5_PKS5_PKT3_PKT4_l16rocsparse_order_S8_PT5_lSH_21rocsparse_index_base_b ; -- Begin function _ZN9rocsparseL30bellmm_general_blockdim_kernelILi32ELi32E21rocsparse_complex_numIdElS2_S2_S2_EEv20rocsparse_operation_S3_20rocsparse_direction_T2_S5_NS_24const_host_device_scalarIT1_EES5_S5_PKS5_PKT3_PKT4_l16rocsparse_order_S8_PT5_lSH_21rocsparse_index_base_b
	.p2align	8
	.type	_ZN9rocsparseL30bellmm_general_blockdim_kernelILi32ELi32E21rocsparse_complex_numIdElS2_S2_S2_EEv20rocsparse_operation_S3_20rocsparse_direction_T2_S5_NS_24const_host_device_scalarIT1_EES5_S5_PKS5_PKT3_PKT4_l16rocsparse_order_S8_PT5_lSH_21rocsparse_index_base_b,@function
_ZN9rocsparseL30bellmm_general_blockdim_kernelILi32ELi32E21rocsparse_complex_numIdElS2_S2_S2_EEv20rocsparse_operation_S3_20rocsparse_direction_T2_S5_NS_24const_host_device_scalarIT1_EES5_S5_PKS5_PKT3_PKT4_l16rocsparse_order_S8_PT5_lSH_21rocsparse_index_base_b: ; @_ZN9rocsparseL30bellmm_general_blockdim_kernelILi32ELi32E21rocsparse_complex_numIdElS2_S2_S2_EEv20rocsparse_operation_S3_20rocsparse_direction_T2_S5_NS_24const_host_device_scalarIT1_EES5_S5_PKS5_PKT3_PKT4_l16rocsparse_order_S8_PT5_lSH_21rocsparse_index_base_b
; %bb.0:
	s_clause 0x1
	s_load_b128 s[28:31], s[2:3], 0x88
	s_load_b256 s[16:23], s[2:3], 0x10
	s_load_b64 s[6:7], s[0:1], 0x4
	s_load_b128 s[8:11], s[2:3], 0x68
	s_mov_b64 s[0:1], src_shared_base
	v_and_b32_e32 v26, 0x3ff, v0
	v_bfe_u32 v27, v0, 10, 10
	v_bfe_u32 v0, v0, 20, 10
	s_mov_b32 s4, s15
	s_waitcnt lgkmcnt(0)
	s_bitcmp1_b32 s30, 0
	s_cselect_b32 s0, -1, 0
	v_mov_b32_e32 v2, s8
	s_and_b32 vcc_lo, s0, exec_lo
	s_cselect_b32 s5, s1, s21
	s_lshr_b32 s6, s6, 16
	v_mov_b32_e32 v5, s5
	s_mul_i32 s6, s6, s7
	s_xor_b32 s5, s0, -1
	v_mul_lo_u32 v1, s6, v26
	v_mov_b32_e32 v3, s9
	s_delay_alu instid0(VALU_DEP_2) | instskip(NEXT) | instid1(VALU_DEP_1)
	v_mad_u32_u24 v1, v27, s7, v1
	v_add_lshl_u32 v6, v1, v0, 3
	v_dual_mov_b32 v0, s20 :: v_dual_mov_b32 v1, s21
	s_delay_alu instid0(VALU_DEP_2)
	v_add_nc_u32_e32 v4, 0xa000, v6
	ds_store_2addr_stride64_b64 v6, v[2:3], v[0:1] offset0:64 offset1:80
	v_add_nc_u32_e32 v0, 0x8000, v6
	v_mov_b32_e32 v6, s22
	v_cndmask_b32_e64 v4, s20, v4, s0
	v_mov_b32_e32 v7, s23
	flat_load_b64 v[4:5], v[4:5]
	s_cbranch_vccnz .LBB9_2
; %bb.1:
	v_dual_mov_b32 v1, s20 :: v_dual_mov_b32 v2, s21
	flat_load_b64 v[6:7], v[1:2] offset:8
.LBB9_2:
	s_and_b32 s6, s0, exec_lo
	s_cselect_b32 s1, s1, s9
	v_cndmask_b32_e64 v0, s8, v0, s0
	v_dual_mov_b32 v1, s1 :: v_dual_mov_b32 v10, s10
	v_mov_b32_e32 v11, s11
	s_and_not1_b32 vcc_lo, exec_lo, s5
	flat_load_b64 v[8:9], v[0:1]
	s_cbranch_vccnz .LBB9_4
; %bb.3:
	v_dual_mov_b32 v0, s8 :: v_dual_mov_b32 v1, s9
	flat_load_b64 v[10:11], v[0:1] offset:8
.LBB9_4:
	s_waitcnt vmcnt(1) lgkmcnt(1)
	v_cmp_eq_f64_e32 vcc_lo, 0, v[4:5]
	v_cmp_eq_f64_e64 s0, 0, v[6:7]
	s_delay_alu instid0(VALU_DEP_1)
	s_and_b32 s5, vcc_lo, s0
	s_mov_b32 s0, -1
	s_and_saveexec_b32 s1, s5
	s_cbranch_execz .LBB9_6
; %bb.5:
	s_waitcnt vmcnt(0) lgkmcnt(0)
	v_cmp_neq_f64_e32 vcc_lo, 1.0, v[8:9]
	v_cmp_neq_f64_e64 s0, 0, v[10:11]
	s_delay_alu instid0(VALU_DEP_1) | instskip(NEXT) | instid1(SALU_CYCLE_1)
	s_or_b32 s0, vcc_lo, s0
	s_or_not1_b32 s0, s0, exec_lo
.LBB9_6:
	s_or_b32 exec_lo, exec_lo, s1
	s_and_saveexec_b32 s1, s0
	s_cbranch_execz .LBB9_68
; %bb.7:
	s_load_b128 s[8:11], s[2:3], 0x30
	s_mov_b32 s15, 0
	s_mov_b64 s[12:13], 0
	v_cmp_ge_i64_e64 s0, s[14:15], s[16:17]
	v_cmp_lt_i64_e64 s40, s[14:15], s[16:17]
	s_delay_alu instid0(VALU_DEP_2)
	s_and_b32 vcc_lo, exec_lo, s0
	s_cbranch_vccnz .LBB9_11
; %bb.8:
	s_waitcnt lgkmcnt(0)
	s_or_b64 s[0:1], s[8:9], s[10:11]
	s_mov_b32 s0, s15
	s_delay_alu instid0(SALU_CYCLE_1)
	s_cmp_lg_u64 s[0:1], 0
	s_cbranch_scc0 .LBB9_69
; %bb.9:
	s_ashr_i32 s0, s11, 31
	s_delay_alu instid0(SALU_CYCLE_1) | instskip(SKIP_2) | instid1(SALU_CYCLE_1)
	s_add_u32 s6, s10, s0
	s_mov_b32 s1, s0
	s_addc_u32 s7, s11, s0
	s_xor_b64 s[6:7], s[6:7], s[0:1]
	s_delay_alu instid0(SALU_CYCLE_1) | instskip(SKIP_3) | instid1(VALU_DEP_1)
	v_cvt_f32_u32_e32 v0, s6
	v_cvt_f32_u32_e32 v1, s7
	s_sub_u32 s13, 0, s6
	s_subb_u32 s15, 0, s7
	v_fmamk_f32 v0, v1, 0x4f800000, v0
	s_delay_alu instid0(VALU_DEP_1) | instskip(SKIP_2) | instid1(VALU_DEP_1)
	v_rcp_f32_e32 v0, v0
	s_waitcnt_depctr 0xfff
	v_mul_f32_e32 v0, 0x5f7ffffc, v0
	v_mul_f32_e32 v1, 0x2f800000, v0
	s_delay_alu instid0(VALU_DEP_1) | instskip(NEXT) | instid1(VALU_DEP_1)
	v_trunc_f32_e32 v1, v1
	v_fmamk_f32 v0, v1, 0xcf800000, v0
	v_cvt_u32_f32_e32 v1, v1
	s_delay_alu instid0(VALU_DEP_2) | instskip(NEXT) | instid1(VALU_DEP_2)
	v_cvt_u32_f32_e32 v0, v0
	v_readfirstlane_b32 s5, v1
	s_delay_alu instid0(VALU_DEP_2) | instskip(NEXT) | instid1(VALU_DEP_2)
	v_readfirstlane_b32 s12, v0
	s_mul_i32 s20, s13, s5
	s_delay_alu instid0(VALU_DEP_1)
	s_mul_hi_u32 s22, s13, s12
	s_mul_i32 s21, s15, s12
	s_add_i32 s20, s22, s20
	s_mul_i32 s23, s13, s12
	s_add_i32 s20, s20, s21
	s_mul_hi_u32 s22, s12, s23
	s_mul_hi_u32 s24, s5, s23
	s_mul_i32 s21, s5, s23
	s_mul_hi_u32 s23, s12, s20
	s_mul_i32 s12, s12, s20
	s_mul_hi_u32 s25, s5, s20
	s_add_u32 s12, s22, s12
	s_addc_u32 s22, 0, s23
	s_add_u32 s12, s12, s21
	s_mul_i32 s20, s5, s20
	s_addc_u32 s12, s22, s24
	s_addc_u32 s21, s25, 0
	s_add_u32 s12, s12, s20
	s_addc_u32 s20, 0, s21
	v_add_co_u32 v0, s12, v0, s12
	s_delay_alu instid0(VALU_DEP_1) | instskip(SKIP_1) | instid1(VALU_DEP_1)
	s_cmp_lg_u32 s12, 0
	s_addc_u32 s5, s5, s20
	v_readfirstlane_b32 s12, v0
	s_mul_i32 s20, s13, s5
	s_delay_alu instid0(VALU_DEP_1)
	s_mul_hi_u32 s21, s13, s12
	s_mul_i32 s15, s15, s12
	s_add_i32 s20, s21, s20
	s_mul_i32 s13, s13, s12
	s_add_i32 s20, s20, s15
	s_mul_hi_u32 s21, s5, s13
	s_mul_i32 s22, s5, s13
	s_mul_hi_u32 s13, s12, s13
	s_mul_hi_u32 s23, s12, s20
	s_mul_i32 s12, s12, s20
	s_mul_hi_u32 s15, s5, s20
	s_add_u32 s12, s13, s12
	s_addc_u32 s13, 0, s23
	s_add_u32 s12, s12, s22
	s_mul_i32 s20, s5, s20
	s_addc_u32 s12, s13, s21
	s_addc_u32 s13, s15, 0
	s_add_u32 s12, s12, s20
	s_addc_u32 s13, 0, s13
	v_add_co_u32 v0, s12, v0, s12
	s_delay_alu instid0(VALU_DEP_1) | instskip(SKIP_2) | instid1(SALU_CYCLE_1)
	s_cmp_lg_u32 s12, 0
	s_addc_u32 s5, s5, s13
	s_ashr_i32 s12, s9, 31
	s_add_u32 s20, s8, s12
	s_addc_u32 s21, s9, s12
	v_readfirstlane_b32 s9, v0
	s_mov_b32 s13, s12
	s_delay_alu instid0(SALU_CYCLE_1) | instskip(NEXT) | instid1(SALU_CYCLE_1)
	s_xor_b64 s[20:21], s[20:21], s[12:13]
	s_mul_i32 s22, s20, s5
	s_delay_alu instid0(VALU_DEP_1)
	s_mul_hi_u32 s23, s20, s9
	s_mul_hi_u32 s15, s20, s5
	s_mul_hi_u32 s25, s21, s9
	s_mul_i32 s9, s21, s9
	s_add_u32 s22, s23, s22
	s_addc_u32 s15, 0, s15
	s_mul_hi_u32 s24, s21, s5
	s_add_u32 s9, s22, s9
	s_mul_i32 s5, s21, s5
	s_addc_u32 s9, s15, s25
	s_addc_u32 s15, s24, 0
	s_add_u32 s5, s9, s5
	s_addc_u32 s9, 0, s15
	s_mul_i32 s24, s6, s5
	s_mul_hi_u32 s15, s6, s5
	s_mul_i32 s23, s6, s9
	v_sub_co_u32 v0, s20, s20, s24
	s_mul_i32 s22, s7, s5
	s_add_i32 s15, s15, s23
	s_delay_alu instid0(SALU_CYCLE_1) | instskip(NEXT) | instid1(VALU_DEP_1)
	s_add_i32 s15, s15, s22
	v_sub_co_u32 v1, s23, v0, s6
	s_sub_i32 s22, s21, s15
	s_cmp_lg_u32 s20, 0
	s_subb_u32 s22, s22, s7
	s_cmp_lg_u32 s23, 0
	v_readfirstlane_b32 s23, v1
	s_subb_u32 s22, s22, 0
	s_delay_alu instid0(SALU_CYCLE_1) | instskip(SKIP_1) | instid1(VALU_DEP_1)
	s_cmp_ge_u32 s22, s7
	s_cselect_b32 s24, -1, 0
	s_cmp_ge_u32 s23, s6
	s_cselect_b32 s23, -1, 0
	s_cmp_eq_u32 s22, s7
	s_cselect_b32 s22, s23, s24
	s_add_u32 s23, s5, 1
	s_addc_u32 s24, s9, 0
	s_add_u32 s25, s5, 2
	s_addc_u32 s26, s9, 0
	s_cmp_lg_u32 s22, 0
	s_cselect_b32 s22, s25, s23
	s_cselect_b32 s23, s26, s24
	s_cmp_lg_u32 s20, 0
	v_readfirstlane_b32 s20, v0
	s_subb_u32 s15, s21, s15
	s_delay_alu instid0(SALU_CYCLE_1) | instskip(SKIP_1) | instid1(VALU_DEP_1)
	s_cmp_ge_u32 s15, s7
	s_cselect_b32 s21, -1, 0
	s_cmp_ge_u32 s20, s6
	s_cselect_b32 s6, -1, 0
	s_cmp_eq_u32 s15, s7
	s_cselect_b32 s6, s6, s21
	s_delay_alu instid0(SALU_CYCLE_1) | instskip(SKIP_3) | instid1(SALU_CYCLE_1)
	s_cmp_lg_u32 s6, 0
	s_cselect_b32 s7, s23, s9
	s_cselect_b32 s6, s22, s5
	s_xor_b64 s[12:13], s[12:13], s[0:1]
	s_xor_b64 s[6:7], s[6:7], s[12:13]
	s_delay_alu instid0(SALU_CYCLE_1)
	s_sub_u32 s12, s6, s12
	s_subb_u32 s13, s7, s13
	s_cbranch_execnz .LBB9_11
.LBB9_10:
	v_cvt_f32_u32_e32 v0, s10
	s_sub_i32 s1, 0, s10
	s_mov_b32 s13, 0
	s_delay_alu instid0(VALU_DEP_1) | instskip(SKIP_2) | instid1(VALU_DEP_1)
	v_rcp_iflag_f32_e32 v0, v0
	s_waitcnt_depctr 0xfff
	v_mul_f32_e32 v0, 0x4f7ffffe, v0
	v_cvt_u32_f32_e32 v0, v0
	s_delay_alu instid0(VALU_DEP_1) | instskip(NEXT) | instid1(VALU_DEP_1)
	v_readfirstlane_b32 s0, v0
	s_mul_i32 s1, s1, s0
	s_delay_alu instid0(SALU_CYCLE_1) | instskip(NEXT) | instid1(SALU_CYCLE_1)
	s_mul_hi_u32 s1, s0, s1
	s_add_i32 s0, s0, s1
	s_delay_alu instid0(SALU_CYCLE_1) | instskip(NEXT) | instid1(SALU_CYCLE_1)
	s_mul_hi_u32 s0, s8, s0
	s_mul_i32 s1, s0, s10
	s_add_i32 s5, s0, 1
	s_sub_i32 s1, s8, s1
	s_delay_alu instid0(SALU_CYCLE_1)
	s_sub_i32 s6, s1, s10
	s_cmp_ge_u32 s1, s10
	s_cselect_b32 s0, s5, s0
	s_cselect_b32 s1, s6, s1
	s_add_i32 s5, s0, 1
	s_cmp_ge_u32 s1, s10
	s_cselect_b32 s12, s5, s0
.LBB9_11:
	s_waitcnt lgkmcnt(0)
	v_cmp_lt_i64_e64 s0, s[10:11], 1
	s_delay_alu instid0(VALU_DEP_1)
	s_and_b32 vcc_lo, exec_lo, s0
	s_cbranch_vccnz .LBB9_68
; %bb.12:
	s_load_b256 s[20:27], s[2:3], 0x40
	s_lshl_b32 s0, s4, 5
	v_lshlrev_b32_e32 v2, 4, v27
	v_add_co_u32 v12, s0, s0, v27
	s_delay_alu instid0(VALU_DEP_1)
	v_add_co_ci_u32_e64 v13, null, 0, 0, s0
	v_lshlrev_b32_e32 v28, 4, v26
	s_clause 0x2
	s_load_b128 s[36:39], s[2:3], 0x0
	s_load_b128 s[4:7], s[2:3], 0x78
	s_load_b32 s2, s[2:3], 0x60
	s_mul_i32 s0, s14, s11
	s_mul_hi_u32 s1, s14, s10
	s_mul_i32 s3, s10, s11
	s_mul_hi_u32 s31, s10, s10
	v_cmp_gt_i64_e64 s41, s[12:13], 0
	s_add_i32 s33, s31, s3
	s_add_i32 s31, s1, s0
	s_waitcnt vmcnt(0)
	v_cmp_neq_f64_e64 s1, 0, v[10:11]
	s_add_i32 s33, s33, s3
	v_lshl_add_u32 v37, v27, 9, 0x4000
	s_mul_i32 s15, s14, s10
	s_waitcnt lgkmcnt(0)
	v_mul_lo_u32 v3, v13, s26
	v_mul_lo_u32 v14, v12, s27
	v_mad_u64_u32 v[0:1], null, v12, s26, 0
	v_add_co_u32 v29, s0, s22, v2
	s_delay_alu instid0(VALU_DEP_1) | instskip(SKIP_1) | instid1(VALU_DEP_4)
	v_add_co_ci_u32_e64 v30, null, s23, 0, s0
	v_add_co_u32 v2, s0, s24, v28
	v_add3_u32 v1, v1, v14, v3
	v_add_co_ci_u32_e64 v3, null, s25, 0, s0
	s_cmpk_eq_i32 s37, 0x6f
	v_cmp_gt_i64_e64 s0, s[18:19], v[12:13]
	s_delay_alu instid0(VALU_DEP_3) | instskip(SKIP_4) | instid1(VALU_DEP_2)
	v_lshlrev_b64 v[0:1], 4, v[0:1]
	s_cselect_b32 s3, -1, 0
	s_cmp_lg_u32 s2, 1
	v_mad_u64_u32 v[14:15], null, v12, s6, 0
	s_cselect_b32 s18, -1, 0
	v_add_co_u32 v31, vcc_lo, v2, v0
	v_add_co_ci_u32_e32 v32, vcc_lo, v3, v1, vcc_lo
	v_cmp_neq_f64_e32 vcc_lo, 0, v[8:9]
	v_lshlrev_b64 v[0:1], 4, v[12:13]
	s_cmp_lg_u32 s38, 0
	v_lshlrev_b32_e32 v2, 5, v27
	s_cselect_b32 s35, -1, 0
	s_cmpk_eq_i32 s37, 0x71
	s_mul_i32 s30, s10, s10
	v_add_co_u32 v33, s2, s24, v0
	s_cselect_b32 s19, -1, 0
	s_cmpk_lg_i32 s37, 0x71
	v_add_co_ci_u32_e64 v34, s2, s25, v1, s2
	s_cselect_b32 s2, -1, 0
	s_cmpk_lg_i32 s36, 0x71
	v_mul_lo_u32 v0, v13, s6
	v_mul_lo_u32 v1, v12, s7
	s_cselect_b32 s24, -1, 0
	v_add_lshl_u32 v35, v2, v26, 4
	s_and_b32 s25, s24, s19
	s_or_b32 s36, s24, s2
	s_xor_b32 s37, s25, -1
	s_or_b32 s38, s24, s19
	s_cmp_lg_u32 s28, 1
	v_add_nc_u32_e32 v36, 0x4000, v35
	v_add3_u32 v15, v15, v1, v0
	s_cselect_b32 s39, -1, 0
	s_xor_b32 s2, s3, s18
	s_mov_b64 s[8:9], 0
	s_mov_b32 s34, s29
	s_and_b32 s40, s40, s0
	s_xor_b32 s43, s2, -1
	s_or_b32 s42, vcc_lo, s1
	s_branch .LBB9_14
.LBB9_13:                               ;   in Loop: Header=BB9_14 Depth=1
	s_or_b32 exec_lo, exec_lo, s1
	s_add_u32 s8, s8, 32
	s_addc_u32 s9, s9, 0
	s_delay_alu instid0(SALU_CYCLE_1) | instskip(NEXT) | instid1(VALU_DEP_1)
	v_cmp_lt_i64_e64 s1, s[8:9], s[10:11]
	s_and_b32 vcc_lo, exec_lo, s1
	s_cbranch_vccz .LBB9_68
.LBB9_14:                               ; =>This Loop Header: Depth=1
                                        ;     Child Loop BB9_17 Depth 2
                                        ;       Child Loop BB9_20 Depth 3
                                        ;         Child Loop BB9_51 Depth 4
                                        ;         Child Loop BB9_45 Depth 4
	;; [unrolled: 1-line block ×4, first 2 shown]
	v_add_co_u32 v16, s1, s8, v26
	s_delay_alu instid0(VALU_DEP_1) | instskip(SKIP_3) | instid1(VALU_DEP_3)
	v_add_co_ci_u32_e64 v17, null, s9, 0, s1
	v_mov_b32_e32 v18, 0
	v_mov_b32_e32 v19, 0
	s_and_not1_b32 vcc_lo, exec_lo, s41
	v_cmp_gt_i64_e64 s1, s[10:11], v[16:17]
	s_delay_alu instid0(VALU_DEP_2)
	v_dual_mov_b32 v21, v19 :: v_dual_mov_b32 v20, v18
	s_cbranch_vccnz .LBB9_59
; %bb.15:                               ;   in Loop: Header=BB9_14 Depth=1
	v_mul_lo_u32 v2, v17, s10
	v_mul_lo_u32 v3, v16, s11
	v_mad_u64_u32 v[0:1], null, v16, s10, 0
	v_mov_b32_e32 v18, 0
	v_mov_b32_e32 v19, 0
	s_mov_b64 s[2:3], 0
	s_delay_alu instid0(VALU_DEP_1) | instskip(NEXT) | instid1(VALU_DEP_4)
	v_dual_mov_b32 v21, v19 :: v_dual_mov_b32 v20, v18
	v_add3_u32 v1, v1, v3, v2
	v_lshlrev_b64 v[2:3], 4, v[16:17]
	s_delay_alu instid0(VALU_DEP_2) | instskip(NEXT) | instid1(VALU_DEP_2)
	v_lshlrev_b64 v[0:1], 4, v[0:1]
	v_add_co_u32 v38, vcc_lo, s22, v2
	s_delay_alu instid0(VALU_DEP_3) | instskip(NEXT) | instid1(VALU_DEP_3)
	v_add_co_ci_u32_e32 v39, vcc_lo, s23, v3, vcc_lo
	v_add_co_u32 v40, vcc_lo, v29, v0
	s_delay_alu instid0(VALU_DEP_4)
	v_add_co_ci_u32_e32 v41, vcc_lo, v30, v1, vcc_lo
	s_branch .LBB9_17
.LBB9_16:                               ;   in Loop: Header=BB9_17 Depth=2
	s_add_u32 s2, s2, 1
	s_addc_u32 s3, s3, 0
	s_delay_alu instid0(SALU_CYCLE_1)
	s_cmp_eq_u64 s[2:3], s[12:13]
	s_cbranch_scc1 .LBB9_59
.LBB9_17:                               ;   Parent Loop BB9_14 Depth=1
                                        ; =>  This Loop Header: Depth=2
                                        ;       Child Loop BB9_20 Depth 3
                                        ;         Child Loop BB9_51 Depth 4
                                        ;         Child Loop BB9_45 Depth 4
	;; [unrolled: 1-line block ×4, first 2 shown]
	s_mul_i32 s18, s2, s17
	s_mul_hi_u32 s19, s2, s16
	s_mul_i32 s24, s2, s16
	s_add_i32 s18, s19, s18
	s_mul_i32 s19, s3, s16
	s_delay_alu instid0(SALU_CYCLE_1)
	s_add_i32 s19, s18, s19
	s_add_u32 s18, s24, s14
	s_addc_u32 s19, s19, 0
	s_mul_hi_u32 s24, s30, s18
	s_mul_i32 s25, s30, s19
	s_mul_i32 s29, s33, s18
	s_add_i32 s28, s24, s25
	s_lshl_b64 s[24:25], s[18:19], 3
	s_add_i32 s19, s28, s29
	s_add_u32 s24, s20, s24
	s_addc_u32 s25, s21, s25
	s_mul_i32 s18, s30, s18
	s_load_b64 s[24:25], s[24:25], 0x0
	s_waitcnt lgkmcnt(0)
	s_sub_u32 s24, s24, s34
	s_subb_u32 s25, s25, 0
	s_lshl_b64 s[28:29], s[18:19], 4
	s_mul_i32 s19, s24, s11
	s_mul_hi_u32 s44, s24, s10
	s_mul_i32 s45, s25, s10
	s_add_i32 s19, s44, s19
	s_mul_i32 s18, s24, s10
	s_add_i32 s19, s19, s45
	v_add_co_u32 v42, vcc_lo, v38, s28
	v_cmp_gt_i64_e64 s44, s[24:25], -1
	s_lshl_b64 s[24:25], s[18:19], 4
	v_add_co_ci_u32_e32 v43, vcc_lo, s29, v39, vcc_lo
	v_add_co_u32 v44, vcc_lo, v31, s24
	v_add_co_ci_u32_e32 v45, vcc_lo, s25, v32, vcc_lo
	v_add_co_u32 v46, vcc_lo, v40, s28
	v_add_co_ci_u32_e32 v47, vcc_lo, s29, v41, vcc_lo
	s_mov_b64 s[24:25], 0
	s_branch .LBB9_20
.LBB9_18:                               ;   in Loop: Header=BB9_20 Depth=3
	s_delay_alu instid0(VALU_DEP_1) | instskip(NEXT) | instid1(VALU_DEP_2)
	v_dual_mov_b32 v21, v3 :: v_dual_mov_b32 v20, v2
	v_dual_mov_b32 v19, v1 :: v_dual_mov_b32 v18, v0
.LBB9_19:                               ;   in Loop: Header=BB9_20 Depth=3
	s_add_u32 s24, s24, 32
	s_addc_u32 s25, s25, 0
	s_delay_alu instid0(SALU_CYCLE_1)
	v_cmp_ge_i64_e64 s28, s[24:25], s[10:11]
	s_barrier
	buffer_gl0_inv
	s_and_b32 vcc_lo, exec_lo, s28
	s_cbranch_vccnz .LBB9_16
.LBB9_20:                               ;   Parent Loop BB9_14 Depth=1
                                        ;     Parent Loop BB9_17 Depth=2
                                        ; =>    This Loop Header: Depth=3
                                        ;         Child Loop BB9_51 Depth 4
                                        ;         Child Loop BB9_45 Depth 4
	;; [unrolled: 1-line block ×4, first 2 shown]
	v_add_co_u32 v0, s28, s24, v26
	s_delay_alu instid0(VALU_DEP_1) | instskip(NEXT) | instid1(VALU_DEP_1)
	v_add_co_ci_u32_e64 v1, null, s25, 0, s28
	v_cmp_gt_i64_e32 vcc_lo, s[10:11], v[0:1]
	s_and_b32 s28, s0, vcc_lo
	s_and_b32 vcc_lo, exec_lo, s43
	s_and_b32 s46, s28, s44
	s_cbranch_vccz .LBB9_24
; %bb.21:                               ;   in Loop: Header=BB9_20 Depth=3
	s_mov_b32 s47, 0
	s_mov_b32 s45, 0
                                        ; implicit-def: $vgpr22_vgpr23
	s_and_saveexec_b32 s28, s46
	s_delay_alu instid0(SALU_CYCLE_1)
	s_xor_b32 s28, exec_lo, s28
; %bb.22:                               ;   in Loop: Header=BB9_20 Depth=3
	v_add_co_u32 v2, vcc_lo, v0, s18
	v_add_co_ci_u32_e32 v0, vcc_lo, s19, v1, vcc_lo
	s_mov_b32 s45, exec_lo
	s_delay_alu instid0(VALU_DEP_2) | instskip(NEXT) | instid1(VALU_DEP_2)
	v_mul_lo_u32 v22, v2, s27
	v_mul_lo_u32 v3, v0, s26
	v_mad_u64_u32 v[0:1], null, v2, s26, 0
	s_delay_alu instid0(VALU_DEP_1) | instskip(NEXT) | instid1(VALU_DEP_1)
	v_add3_u32 v1, v1, v22, v3
	v_lshlrev_b64 v[0:1], 4, v[0:1]
	s_delay_alu instid0(VALU_DEP_1) | instskip(NEXT) | instid1(VALU_DEP_2)
	v_add_co_u32 v22, vcc_lo, v33, v0
	v_add_co_ci_u32_e32 v23, vcc_lo, v34, v1, vcc_lo
; %bb.23:                               ;   in Loop: Header=BB9_20 Depth=3
	s_or_b32 exec_lo, exec_lo, s28
	s_mov_b64 s[28:29], 0
	s_and_b32 vcc_lo, exec_lo, s47
	s_cbranch_vccnz .LBB9_25
	s_branch .LBB9_28
.LBB9_24:                               ;   in Loop: Header=BB9_20 Depth=3
	s_mov_b32 s45, 0
                                        ; implicit-def: $vgpr22_vgpr23
                                        ; implicit-def: $sgpr28_sgpr29
	s_cbranch_execz .LBB9_28
.LBB9_25:                               ;   in Loop: Header=BB9_20 Depth=3
                                        ; implicit-def: $vgpr22_vgpr23
	s_and_saveexec_b32 s28, s46
; %bb.26:                               ;   in Loop: Header=BB9_20 Depth=3
	s_lshl_b64 s[46:47], s[24:25], 4
	s_or_b32 s45, s45, exec_lo
	v_add_co_u32 v22, vcc_lo, v44, s46
	v_add_co_ci_u32_e32 v23, vcc_lo, s47, v45, vcc_lo
; %bb.27:                               ;   in Loop: Header=BB9_20 Depth=3
	s_or_b32 exec_lo, exec_lo, s28
	s_mov_b64 s[28:29], 0
.LBB9_28:                               ;   in Loop: Header=BB9_20 Depth=3
	s_delay_alu instid0(SALU_CYCLE_1)
	v_dual_mov_b32 v0, s28 :: v_dual_mov_b32 v1, s29
	v_dual_mov_b32 v2, s28 :: v_dual_mov_b32 v3, s29
	s_and_saveexec_b32 s28, s45
	s_cbranch_execz .LBB9_30
; %bb.29:                               ;   in Loop: Header=BB9_20 Depth=3
	global_load_b128 v[0:3], v[22:23], off
.LBB9_30:                               ;   in Loop: Header=BB9_20 Depth=3
	s_or_b32 exec_lo, exec_lo, s28
	v_add_co_u32 v24, s28, s24, v27
	s_delay_alu instid0(VALU_DEP_1)
	v_add_co_ci_u32_e64 v25, null, s25, 0, s28
	s_waitcnt vmcnt(0)
	ds_store_b128 v36, v[0:3]
	v_cmp_gt_i64_e32 vcc_lo, s[10:11], v[24:25]
	s_and_b32 s28, s1, vcc_lo
	s_and_b32 vcc_lo, exec_lo, s35
	s_and_b32 s46, s28, s44
	s_cbranch_vccz .LBB9_34
; %bb.31:                               ;   in Loop: Header=BB9_20 Depth=3
	s_mov_b32 s47, 0
	s_mov_b32 s45, 0
                                        ; implicit-def: $vgpr22_vgpr23
	s_and_saveexec_b32 s28, s46
	s_delay_alu instid0(SALU_CYCLE_1)
	s_xor_b32 s28, exec_lo, s28
; %bb.32:                               ;   in Loop: Header=BB9_20 Depth=3
	v_mul_lo_u32 v2, v25, s10
	v_mul_lo_u32 v3, v24, s11
	v_mad_u64_u32 v[0:1], null, v24, s10, 0
	s_mov_b32 s45, exec_lo
	s_delay_alu instid0(VALU_DEP_1) | instskip(NEXT) | instid1(VALU_DEP_1)
	v_add3_u32 v1, v1, v3, v2
	v_lshlrev_b64 v[0:1], 4, v[0:1]
	s_delay_alu instid0(VALU_DEP_1) | instskip(NEXT) | instid1(VALU_DEP_2)
	v_add_co_u32 v22, vcc_lo, v42, v0
	v_add_co_ci_u32_e32 v23, vcc_lo, v43, v1, vcc_lo
; %bb.33:                               ;   in Loop: Header=BB9_20 Depth=3
	s_or_b32 exec_lo, exec_lo, s28
	s_mov_b64 s[28:29], 0
	s_and_b32 vcc_lo, exec_lo, s47
	s_cbranch_vccnz .LBB9_35
	s_branch .LBB9_38
.LBB9_34:                               ;   in Loop: Header=BB9_20 Depth=3
	s_mov_b32 s45, 0
                                        ; implicit-def: $vgpr22_vgpr23
                                        ; implicit-def: $sgpr28_sgpr29
	s_cbranch_execz .LBB9_38
.LBB9_35:                               ;   in Loop: Header=BB9_20 Depth=3
                                        ; implicit-def: $vgpr22_vgpr23
	s_and_saveexec_b32 s28, s46
; %bb.36:                               ;   in Loop: Header=BB9_20 Depth=3
	s_lshl_b64 s[46:47], s[24:25], 4
	s_or_b32 s45, s45, exec_lo
	v_add_co_u32 v22, vcc_lo, v46, s46
	v_add_co_ci_u32_e32 v23, vcc_lo, s47, v47, vcc_lo
; %bb.37:                               ;   in Loop: Header=BB9_20 Depth=3
	s_or_b32 exec_lo, exec_lo, s28
	s_mov_b64 s[28:29], 0
.LBB9_38:                               ;   in Loop: Header=BB9_20 Depth=3
	s_delay_alu instid0(SALU_CYCLE_1)
	v_dual_mov_b32 v0, s28 :: v_dual_mov_b32 v1, s29
	v_dual_mov_b32 v2, s28 :: v_dual_mov_b32 v3, s29
	s_and_saveexec_b32 s28, s45
	s_cbranch_execz .LBB9_40
; %bb.39:                               ;   in Loop: Header=BB9_20 Depth=3
	global_load_b128 v[0:3], v[22:23], off
.LBB9_40:                               ;   in Loop: Header=BB9_20 Depth=3
	s_or_b32 exec_lo, exec_lo, s28
	s_delay_alu instid0(SALU_CYCLE_1)
	s_and_not1_b32 vcc_lo, exec_lo, s44
	s_waitcnt vmcnt(0)
	ds_store_b128 v35, v[0:3]
	s_waitcnt lgkmcnt(0)
	s_waitcnt_vscnt null, 0x0
	s_barrier
	buffer_gl0_inv
	s_cbranch_vccnz .LBB9_19
; %bb.41:                               ;   in Loop: Header=BB9_20 Depth=3
	s_and_b32 vcc_lo, exec_lo, s36
	s_cbranch_vccz .LBB9_47
; %bb.42:                               ;   in Loop: Header=BB9_20 Depth=3
	s_and_b32 vcc_lo, exec_lo, s37
	s_cbranch_vccz .LBB9_48
; %bb.43:                               ;   in Loop: Header=BB9_20 Depth=3
	s_and_not1_b32 vcc_lo, exec_lo, s38
	s_cbranch_vccnz .LBB9_49
; %bb.44:                               ;   in Loop: Header=BB9_20 Depth=3
	v_dual_mov_b32 v22, v37 :: v_dual_mov_b32 v23, v28
	v_dual_mov_b32 v0, v18 :: v_dual_mov_b32 v1, v19
	;; [unrolled: 1-line block ×3, first 2 shown]
	s_mov_b64 s[28:29], 32
.LBB9_45:                               ;   Parent Loop BB9_14 Depth=1
                                        ;     Parent Loop BB9_17 Depth=2
                                        ;       Parent Loop BB9_20 Depth=3
                                        ; =>      This Inner Loop Header: Depth=4
	ds_load_b128 v[48:51], v23
	ds_load_b128 v[52:55], v22
	ds_load_b128 v[56:59], v22 offset:16
	ds_load_b128 v[60:63], v23 offset:512
	s_add_u32 s28, s28, -4
	s_addc_u32 s29, s29, -1
	s_delay_alu instid0(SALU_CYCLE_1) | instskip(SKIP_3) | instid1(VALU_DEP_2)
	s_cmp_lg_u64 s[28:29], 0
	s_waitcnt lgkmcnt(2)
	v_fma_f64 v[2:3], v[48:49], v[52:53], v[2:3]
	v_fma_f64 v[0:1], v[50:51], v[52:53], v[0:1]
	v_fma_f64 v[2:3], -v[50:51], v[54:55], v[2:3]
	s_delay_alu instid0(VALU_DEP_2) | instskip(SKIP_1) | instid1(VALU_DEP_2)
	v_fma_f64 v[0:1], v[48:49], v[54:55], v[0:1]
	s_waitcnt lgkmcnt(0)
	v_fma_f64 v[2:3], v[60:61], v[56:57], v[2:3]
	s_delay_alu instid0(VALU_DEP_2) | instskip(NEXT) | instid1(VALU_DEP_2)
	v_fma_f64 v[0:1], v[62:63], v[56:57], v[0:1]
	v_fma_f64 v[24:25], -v[62:63], v[58:59], v[2:3]
	s_delay_alu instid0(VALU_DEP_2)
	v_fma_f64 v[60:61], v[60:61], v[58:59], v[0:1]
	ds_load_b128 v[0:3], v23 offset:1024
	ds_load_b128 v[48:51], v22 offset:32
	ds_load_b128 v[52:55], v22 offset:48
	ds_load_b128 v[56:59], v23 offset:1536
	v_add_nc_u32_e32 v23, 0x800, v23
	v_add_nc_u32_e32 v22, 64, v22
	s_waitcnt lgkmcnt(2)
	v_fma_f64 v[24:25], v[0:1], v[48:49], v[24:25]
	v_fma_f64 v[48:49], v[2:3], v[48:49], v[60:61]
	s_delay_alu instid0(VALU_DEP_2) | instskip(NEXT) | instid1(VALU_DEP_2)
	v_fma_f64 v[2:3], -v[2:3], v[50:51], v[24:25]
	v_fma_f64 v[0:1], v[0:1], v[50:51], v[48:49]
	s_waitcnt lgkmcnt(0)
	s_delay_alu instid0(VALU_DEP_2) | instskip(NEXT) | instid1(VALU_DEP_2)
	v_fma_f64 v[2:3], v[56:57], v[52:53], v[2:3]
	v_fma_f64 v[0:1], v[58:59], v[52:53], v[0:1]
	s_delay_alu instid0(VALU_DEP_2) | instskip(NEXT) | instid1(VALU_DEP_2)
	v_fma_f64 v[2:3], -v[58:59], v[54:55], v[2:3]
	v_fma_f64 v[0:1], v[56:57], v[54:55], v[0:1]
	s_cbranch_scc1 .LBB9_45
; %bb.46:                               ;   in Loop: Header=BB9_20 Depth=3
	s_branch .LBB9_52
.LBB9_47:                               ;   in Loop: Header=BB9_20 Depth=3
                                        ; implicit-def: $vgpr0_vgpr1
                                        ; implicit-def: $vgpr2_vgpr3
	s_branch .LBB9_56
.LBB9_48:                               ;   in Loop: Header=BB9_20 Depth=3
                                        ; implicit-def: $vgpr0_vgpr1
                                        ; implicit-def: $vgpr2_vgpr3
	s_branch .LBB9_53
.LBB9_49:                               ;   in Loop: Header=BB9_20 Depth=3
                                        ; implicit-def: $vgpr0_vgpr1
                                        ; implicit-def: $vgpr2_vgpr3
	s_cbranch_execz .LBB9_52
; %bb.50:                               ;   in Loop: Header=BB9_20 Depth=3
	v_dual_mov_b32 v22, v37 :: v_dual_mov_b32 v23, v28
	v_dual_mov_b32 v0, v18 :: v_dual_mov_b32 v1, v19
	;; [unrolled: 1-line block ×3, first 2 shown]
	s_mov_b64 s[28:29], 32
.LBB9_51:                               ;   Parent Loop BB9_14 Depth=1
                                        ;     Parent Loop BB9_17 Depth=2
                                        ;       Parent Loop BB9_20 Depth=3
                                        ; =>      This Inner Loop Header: Depth=4
	ds_load_b128 v[48:51], v23
	ds_load_b128 v[52:55], v22
	ds_load_b128 v[56:59], v22 offset:16
	ds_load_b128 v[60:63], v23 offset:512
	s_add_u32 s28, s28, -4
	s_addc_u32 s29, s29, -1
	s_delay_alu instid0(SALU_CYCLE_1) | instskip(SKIP_3) | instid1(VALU_DEP_2)
	s_cmp_eq_u64 s[28:29], 0
	s_waitcnt lgkmcnt(2)
	v_fma_f64 v[2:3], v[48:49], v[52:53], v[2:3]
	v_fma_f64 v[0:1], -v[50:51], v[52:53], v[0:1]
	v_fma_f64 v[2:3], v[50:51], v[54:55], v[2:3]
	s_delay_alu instid0(VALU_DEP_2) | instskip(SKIP_1) | instid1(VALU_DEP_2)
	v_fma_f64 v[0:1], v[48:49], v[54:55], v[0:1]
	s_waitcnt lgkmcnt(0)
	v_fma_f64 v[2:3], v[60:61], v[56:57], v[2:3]
	s_delay_alu instid0(VALU_DEP_2) | instskip(NEXT) | instid1(VALU_DEP_2)
	v_fma_f64 v[0:1], -v[62:63], v[56:57], v[0:1]
	v_fma_f64 v[24:25], v[62:63], v[58:59], v[2:3]
	s_delay_alu instid0(VALU_DEP_2)
	v_fma_f64 v[60:61], v[60:61], v[58:59], v[0:1]
	ds_load_b128 v[0:3], v23 offset:1024
	ds_load_b128 v[48:51], v22 offset:32
	;; [unrolled: 1-line block ×4, first 2 shown]
	v_add_nc_u32_e32 v23, 0x800, v23
	v_add_nc_u32_e32 v22, 64, v22
	s_waitcnt lgkmcnt(2)
	v_fma_f64 v[24:25], v[0:1], v[48:49], v[24:25]
	v_fma_f64 v[48:49], -v[2:3], v[48:49], v[60:61]
	s_delay_alu instid0(VALU_DEP_2) | instskip(NEXT) | instid1(VALU_DEP_2)
	v_fma_f64 v[2:3], v[2:3], v[50:51], v[24:25]
	v_fma_f64 v[0:1], v[0:1], v[50:51], v[48:49]
	s_waitcnt lgkmcnt(0)
	s_delay_alu instid0(VALU_DEP_2) | instskip(NEXT) | instid1(VALU_DEP_2)
	v_fma_f64 v[2:3], v[56:57], v[52:53], v[2:3]
	v_fma_f64 v[0:1], -v[58:59], v[52:53], v[0:1]
	s_delay_alu instid0(VALU_DEP_2) | instskip(NEXT) | instid1(VALU_DEP_2)
	v_fma_f64 v[2:3], v[58:59], v[54:55], v[2:3]
	v_fma_f64 v[0:1], v[56:57], v[54:55], v[0:1]
	s_cbranch_scc0 .LBB9_51
.LBB9_52:                               ;   in Loop: Header=BB9_20 Depth=3
	s_cbranch_execnz .LBB9_55
.LBB9_53:                               ;   in Loop: Header=BB9_20 Depth=3
	v_dual_mov_b32 v22, v37 :: v_dual_mov_b32 v23, v28
	v_dual_mov_b32 v0, v18 :: v_dual_mov_b32 v1, v19
	;; [unrolled: 1-line block ×3, first 2 shown]
	s_mov_b64 s[28:29], 32
.LBB9_54:                               ;   Parent Loop BB9_14 Depth=1
                                        ;     Parent Loop BB9_17 Depth=2
                                        ;       Parent Loop BB9_20 Depth=3
                                        ; =>      This Inner Loop Header: Depth=4
	ds_load_b128 v[48:51], v23
	ds_load_b128 v[52:55], v22
	ds_load_b128 v[56:59], v22 offset:16
	ds_load_b128 v[60:63], v23 offset:512
	s_add_u32 s28, s28, -4
	s_addc_u32 s29, s29, -1
	s_delay_alu instid0(SALU_CYCLE_1) | instskip(SKIP_3) | instid1(VALU_DEP_2)
	s_cmp_eq_u64 s[28:29], 0
	s_waitcnt lgkmcnt(2)
	v_fma_f64 v[2:3], v[48:49], v[52:53], v[2:3]
	v_fma_f64 v[0:1], v[50:51], v[52:53], v[0:1]
	v_fma_f64 v[2:3], v[50:51], v[54:55], v[2:3]
	s_delay_alu instid0(VALU_DEP_2) | instskip(SKIP_1) | instid1(VALU_DEP_2)
	v_fma_f64 v[0:1], v[48:49], -v[54:55], v[0:1]
	s_waitcnt lgkmcnt(0)
	v_fma_f64 v[2:3], v[60:61], v[56:57], v[2:3]
	s_delay_alu instid0(VALU_DEP_2) | instskip(NEXT) | instid1(VALU_DEP_2)
	v_fma_f64 v[0:1], v[62:63], v[56:57], v[0:1]
	v_fma_f64 v[24:25], v[62:63], v[58:59], v[2:3]
	s_delay_alu instid0(VALU_DEP_2)
	v_fma_f64 v[60:61], v[60:61], -v[58:59], v[0:1]
	ds_load_b128 v[0:3], v23 offset:1024
	ds_load_b128 v[48:51], v22 offset:32
	;; [unrolled: 1-line block ×4, first 2 shown]
	v_add_nc_u32_e32 v23, 0x800, v23
	v_add_nc_u32_e32 v22, 64, v22
	s_waitcnt lgkmcnt(2)
	v_fma_f64 v[24:25], v[0:1], v[48:49], v[24:25]
	v_fma_f64 v[48:49], v[2:3], v[48:49], v[60:61]
	s_delay_alu instid0(VALU_DEP_2) | instskip(NEXT) | instid1(VALU_DEP_2)
	v_fma_f64 v[2:3], v[2:3], v[50:51], v[24:25]
	v_fma_f64 v[0:1], v[0:1], -v[50:51], v[48:49]
	s_waitcnt lgkmcnt(0)
	s_delay_alu instid0(VALU_DEP_2) | instskip(NEXT) | instid1(VALU_DEP_2)
	v_fma_f64 v[2:3], v[56:57], v[52:53], v[2:3]
	v_fma_f64 v[0:1], v[58:59], v[52:53], v[0:1]
	s_delay_alu instid0(VALU_DEP_2) | instskip(NEXT) | instid1(VALU_DEP_2)
	v_fma_f64 v[2:3], v[58:59], v[54:55], v[2:3]
	v_fma_f64 v[0:1], v[56:57], -v[54:55], v[0:1]
	s_cbranch_scc0 .LBB9_54
.LBB9_55:                               ;   in Loop: Header=BB9_20 Depth=3
	s_cbranch_execnz .LBB9_18
.LBB9_56:                               ;   in Loop: Header=BB9_20 Depth=3
	v_dual_mov_b32 v0, v37 :: v_dual_mov_b32 v1, v28
	s_mov_b64 s[28:29], 32
.LBB9_57:                               ;   Parent Loop BB9_14 Depth=1
                                        ;     Parent Loop BB9_17 Depth=2
                                        ;       Parent Loop BB9_20 Depth=3
                                        ; =>      This Inner Loop Header: Depth=4
	ds_load_b128 v[22:25], v1
	ds_load_b128 v[48:51], v0
	ds_load_b128 v[52:55], v0 offset:16
	ds_load_b128 v[56:59], v1 offset:512
	s_add_u32 s28, s28, -4
	s_addc_u32 s29, s29, -1
	s_delay_alu instid0(SALU_CYCLE_1) | instskip(SKIP_3) | instid1(VALU_DEP_2)
	s_cmp_eq_u64 s[28:29], 0
	s_waitcnt lgkmcnt(2)
	v_fma_f64 v[2:3], v[22:23], v[48:49], v[20:21]
	v_fma_f64 v[18:19], -v[24:25], v[48:49], v[18:19]
	v_fma_f64 v[2:3], v[24:25], -v[50:51], v[2:3]
	s_delay_alu instid0(VALU_DEP_2) | instskip(SKIP_1) | instid1(VALU_DEP_2)
	v_fma_f64 v[18:19], v[22:23], -v[50:51], v[18:19]
	s_waitcnt lgkmcnt(0)
	v_fma_f64 v[2:3], v[56:57], v[52:53], v[2:3]
	s_delay_alu instid0(VALU_DEP_2) | instskip(NEXT) | instid1(VALU_DEP_2)
	v_fma_f64 v[18:19], -v[58:59], v[52:53], v[18:19]
	v_fma_f64 v[2:3], v[58:59], -v[54:55], v[2:3]
	s_delay_alu instid0(VALU_DEP_2)
	v_fma_f64 v[56:57], v[56:57], -v[54:55], v[18:19]
	ds_load_b128 v[18:21], v1 offset:1024
	ds_load_b128 v[22:25], v0 offset:32
	;; [unrolled: 1-line block ×4, first 2 shown]
	v_add_nc_u32_e32 v1, 0x800, v1
	v_add_nc_u32_e32 v0, 64, v0
	s_waitcnt lgkmcnt(2)
	v_fma_f64 v[2:3], v[18:19], v[22:23], v[2:3]
	v_fma_f64 v[22:23], -v[20:21], v[22:23], v[56:57]
	s_delay_alu instid0(VALU_DEP_2) | instskip(NEXT) | instid1(VALU_DEP_2)
	v_fma_f64 v[2:3], v[20:21], -v[24:25], v[2:3]
	v_fma_f64 v[18:19], v[18:19], -v[24:25], v[22:23]
	s_waitcnt lgkmcnt(0)
	s_delay_alu instid0(VALU_DEP_2) | instskip(NEXT) | instid1(VALU_DEP_2)
	v_fma_f64 v[2:3], v[52:53], v[48:49], v[2:3]
	v_fma_f64 v[18:19], -v[54:55], v[48:49], v[18:19]
	s_delay_alu instid0(VALU_DEP_2) | instskip(NEXT) | instid1(VALU_DEP_2)
	v_fma_f64 v[20:21], v[54:55], -v[50:51], v[2:3]
	v_fma_f64 v[18:19], v[52:53], -v[50:51], v[18:19]
	s_cbranch_scc0 .LBB9_57
; %bb.58:                               ;   in Loop: Header=BB9_20 Depth=3
	s_delay_alu instid0(VALU_DEP_1) | instskip(NEXT) | instid1(VALU_DEP_3)
	v_dual_mov_b32 v0, v18 :: v_dual_mov_b32 v1, v19
	v_dual_mov_b32 v2, v20 :: v_dual_mov_b32 v3, v21
	s_branch .LBB9_18
.LBB9_59:                               ;   in Loop: Header=BB9_14 Depth=1
	v_add_co_u32 v2, vcc_lo, v16, s15
	v_add_co_ci_u32_e32 v3, vcc_lo, s31, v17, vcc_lo
	s_and_b32 vcc_lo, exec_lo, s39
	s_cbranch_vccz .LBB9_61
; %bb.60:                               ;   in Loop: Header=BB9_14 Depth=1
	s_delay_alu instid0(VALU_DEP_2) | instskip(SKIP_2) | instid1(VALU_DEP_1)
	v_mad_u64_u32 v[0:1], null, v2, s6, v[12:13]
	v_mul_lo_u32 v22, v2, s7
	v_mul_lo_u32 v23, v3, s6
	v_add3_u32 v1, v23, v1, v22
	s_cbranch_execz .LBB9_62
	s_branch .LBB9_63
.LBB9_61:                               ;   in Loop: Header=BB9_14 Depth=1
                                        ; implicit-def: $vgpr0_vgpr1
.LBB9_62:                               ;   in Loop: Header=BB9_14 Depth=1
	s_delay_alu instid0(VALU_DEP_2) | instskip(NEXT) | instid1(VALU_DEP_2)
	v_add_co_u32 v0, vcc_lo, v2, v14
	v_add_co_ci_u32_e32 v1, vcc_lo, v3, v15, vcc_lo
.LBB9_63:                               ;   in Loop: Header=BB9_14 Depth=1
	v_cmp_gt_i64_e32 vcc_lo, s[10:11], v[16:17]
	s_and_b32 s2, s40, vcc_lo
	s_delay_alu instid0(SALU_CYCLE_1)
	s_and_saveexec_b32 s1, s2
	s_cbranch_execz .LBB9_13
; %bb.64:                               ;   in Loop: Header=BB9_14 Depth=1
	s_and_saveexec_b32 s2, s42
	s_delay_alu instid0(SALU_CYCLE_1)
	s_xor_b32 s2, exec_lo, s2
	s_cbranch_execz .LBB9_66
; %bb.65:                               ;   in Loop: Header=BB9_14 Depth=1
	v_lshlrev_b64 v[0:1], 4, v[0:1]
	v_mul_f64 v[22:23], v[18:19], -v[6:7]
	v_mul_f64 v[18:19], v[4:5], v[18:19]
	s_delay_alu instid0(VALU_DEP_3) | instskip(NEXT) | instid1(VALU_DEP_4)
	v_add_co_u32 v16, vcc_lo, s4, v0
	v_add_co_ci_u32_e32 v17, vcc_lo, s5, v1, vcc_lo
	global_load_b128 v[0:3], v[16:17], off
	v_fma_f64 v[22:23], v[4:5], v[20:21], v[22:23]
	v_fma_f64 v[18:19], v[6:7], v[20:21], v[18:19]
	s_waitcnt vmcnt(0)
	s_delay_alu instid0(VALU_DEP_2) | instskip(NEXT) | instid1(VALU_DEP_2)
	v_fma_f64 v[20:21], v[8:9], v[0:1], v[22:23]
	v_fma_f64 v[18:19], v[10:11], v[0:1], v[18:19]
	s_delay_alu instid0(VALU_DEP_2) | instskip(NEXT) | instid1(VALU_DEP_2)
	v_fma_f64 v[0:1], -v[10:11], v[2:3], v[20:21]
	v_fma_f64 v[2:3], v[8:9], v[2:3], v[18:19]
                                        ; implicit-def: $vgpr18_vgpr19
                                        ; implicit-def: $vgpr20_vgpr21
	global_store_b128 v[16:17], v[0:3], off
                                        ; implicit-def: $vgpr0_vgpr1
.LBB9_66:                               ;   in Loop: Header=BB9_14 Depth=1
	s_and_not1_saveexec_b32 s2, s2
	s_cbranch_execz .LBB9_13
; %bb.67:                               ;   in Loop: Header=BB9_14 Depth=1
	v_mul_f64 v[2:3], v[18:19], -v[6:7]
	v_mul_f64 v[18:19], v[4:5], v[18:19]
	v_lshlrev_b64 v[0:1], 4, v[0:1]
	s_delay_alu instid0(VALU_DEP_1) | instskip(NEXT) | instid1(VALU_DEP_2)
	v_add_co_u32 v0, vcc_lo, s4, v0
	v_add_co_ci_u32_e32 v1, vcc_lo, s5, v1, vcc_lo
	v_fma_f64 v[16:17], v[4:5], v[20:21], v[2:3]
	v_fma_f64 v[18:19], v[6:7], v[20:21], v[18:19]
	global_store_b128 v[0:1], v[16:19], off
	s_branch .LBB9_13
.LBB9_68:
	s_nop 0
	s_sendmsg sendmsg(MSG_DEALLOC_VGPRS)
	s_endpgm
.LBB9_69:
                                        ; implicit-def: $sgpr12_sgpr13
	s_branch .LBB9_10
	.section	.rodata,"a",@progbits
	.p2align	6, 0x0
	.amdhsa_kernel _ZN9rocsparseL30bellmm_general_blockdim_kernelILi32ELi32E21rocsparse_complex_numIdElS2_S2_S2_EEv20rocsparse_operation_S3_20rocsparse_direction_T2_S5_NS_24const_host_device_scalarIT1_EES5_S5_PKS5_PKT3_PKT4_l16rocsparse_order_S8_PT5_lSH_21rocsparse_index_base_b
		.amdhsa_group_segment_fixed_size 49152
		.amdhsa_private_segment_fixed_size 0
		.amdhsa_kernarg_size 148
		.amdhsa_user_sgpr_count 14
		.amdhsa_user_sgpr_dispatch_ptr 1
		.amdhsa_user_sgpr_queue_ptr 0
		.amdhsa_user_sgpr_kernarg_segment_ptr 1
		.amdhsa_user_sgpr_dispatch_id 0
		.amdhsa_user_sgpr_private_segment_size 0
		.amdhsa_wavefront_size32 1
		.amdhsa_uses_dynamic_stack 0
		.amdhsa_enable_private_segment 0
		.amdhsa_system_sgpr_workgroup_id_x 1
		.amdhsa_system_sgpr_workgroup_id_y 1
		.amdhsa_system_sgpr_workgroup_id_z 0
		.amdhsa_system_sgpr_workgroup_info 0
		.amdhsa_system_vgpr_workitem_id 2
		.amdhsa_next_free_vgpr 64
		.amdhsa_next_free_sgpr 48
		.amdhsa_reserve_vcc 1
		.amdhsa_float_round_mode_32 0
		.amdhsa_float_round_mode_16_64 0
		.amdhsa_float_denorm_mode_32 3
		.amdhsa_float_denorm_mode_16_64 3
		.amdhsa_dx10_clamp 1
		.amdhsa_ieee_mode 1
		.amdhsa_fp16_overflow 0
		.amdhsa_workgroup_processor_mode 1
		.amdhsa_memory_ordered 1
		.amdhsa_forward_progress 0
		.amdhsa_shared_vgpr_count 0
		.amdhsa_exception_fp_ieee_invalid_op 0
		.amdhsa_exception_fp_denorm_src 0
		.amdhsa_exception_fp_ieee_div_zero 0
		.amdhsa_exception_fp_ieee_overflow 0
		.amdhsa_exception_fp_ieee_underflow 0
		.amdhsa_exception_fp_ieee_inexact 0
		.amdhsa_exception_int_div_zero 0
	.end_amdhsa_kernel
	.section	.text._ZN9rocsparseL30bellmm_general_blockdim_kernelILi32ELi32E21rocsparse_complex_numIdElS2_S2_S2_EEv20rocsparse_operation_S3_20rocsparse_direction_T2_S5_NS_24const_host_device_scalarIT1_EES5_S5_PKS5_PKT3_PKT4_l16rocsparse_order_S8_PT5_lSH_21rocsparse_index_base_b,"axG",@progbits,_ZN9rocsparseL30bellmm_general_blockdim_kernelILi32ELi32E21rocsparse_complex_numIdElS2_S2_S2_EEv20rocsparse_operation_S3_20rocsparse_direction_T2_S5_NS_24const_host_device_scalarIT1_EES5_S5_PKS5_PKT3_PKT4_l16rocsparse_order_S8_PT5_lSH_21rocsparse_index_base_b,comdat
.Lfunc_end9:
	.size	_ZN9rocsparseL30bellmm_general_blockdim_kernelILi32ELi32E21rocsparse_complex_numIdElS2_S2_S2_EEv20rocsparse_operation_S3_20rocsparse_direction_T2_S5_NS_24const_host_device_scalarIT1_EES5_S5_PKS5_PKT3_PKT4_l16rocsparse_order_S8_PT5_lSH_21rocsparse_index_base_b, .Lfunc_end9-_ZN9rocsparseL30bellmm_general_blockdim_kernelILi32ELi32E21rocsparse_complex_numIdElS2_S2_S2_EEv20rocsparse_operation_S3_20rocsparse_direction_T2_S5_NS_24const_host_device_scalarIT1_EES5_S5_PKS5_PKT3_PKT4_l16rocsparse_order_S8_PT5_lSH_21rocsparse_index_base_b
                                        ; -- End function
	.section	.AMDGPU.csdata,"",@progbits
; Kernel info:
; codeLenInByte = 4128
; NumSgprs: 50
; NumVgprs: 64
; ScratchSize: 0
; MemoryBound: 1
; FloatMode: 240
; IeeeMode: 1
; LDSByteSize: 49152 bytes/workgroup (compile time only)
; SGPRBlocks: 6
; VGPRBlocks: 7
; NumSGPRsForWavesPerEU: 50
; NumVGPRsForWavesPerEU: 64
; Occupancy: 16
; WaveLimiterHint : 1
; COMPUTE_PGM_RSRC2:SCRATCH_EN: 0
; COMPUTE_PGM_RSRC2:USER_SGPR: 14
; COMPUTE_PGM_RSRC2:TRAP_HANDLER: 0
; COMPUTE_PGM_RSRC2:TGID_X_EN: 1
; COMPUTE_PGM_RSRC2:TGID_Y_EN: 1
; COMPUTE_PGM_RSRC2:TGID_Z_EN: 0
; COMPUTE_PGM_RSRC2:TIDIG_COMP_CNT: 2
	.text
	.p2alignl 7, 3214868480
	.fill 96, 4, 3214868480
	.type	__hip_cuid_8c624ee85b45f78b,@object ; @__hip_cuid_8c624ee85b45f78b
	.section	.bss,"aw",@nobits
	.globl	__hip_cuid_8c624ee85b45f78b
__hip_cuid_8c624ee85b45f78b:
	.byte	0                               ; 0x0
	.size	__hip_cuid_8c624ee85b45f78b, 1

	.ident	"AMD clang version 19.0.0git (https://github.com/RadeonOpenCompute/llvm-project roc-6.4.0 25133 c7fe45cf4b819c5991fe208aaa96edf142730f1d)"
	.section	".note.GNU-stack","",@progbits
	.addrsig
	.addrsig_sym __hip_cuid_8c624ee85b45f78b
	.amdgpu_metadata
---
amdhsa.kernels:
  - .args:
      - .offset:         0
        .size:           4
        .value_kind:     by_value
      - .offset:         4
        .size:           4
        .value_kind:     by_value
      - .offset:         8
        .size:           4
        .value_kind:     by_value
      - .offset:         12
        .size:           4
        .value_kind:     by_value
      - .offset:         16
        .size:           4
        .value_kind:     by_value
      - .offset:         24
        .size:           8
        .value_kind:     by_value
      - .offset:         32
        .size:           4
        .value_kind:     by_value
      - .offset:         36
        .size:           4
        .value_kind:     by_value
      - .actual_access:  read_only
        .address_space:  global
        .offset:         40
        .size:           8
        .value_kind:     global_buffer
      - .actual_access:  read_only
        .address_space:  global
        .offset:         48
        .size:           8
        .value_kind:     global_buffer
      - .actual_access:  read_only
        .address_space:  global
        .offset:         56
        .size:           8
        .value_kind:     global_buffer
      - .offset:         64
        .size:           8
        .value_kind:     by_value
      - .offset:         72
        .size:           4
        .value_kind:     by_value
      - .offset:         80
        .size:           8
        .value_kind:     by_value
      - .address_space:  global
        .offset:         88
        .size:           8
        .value_kind:     global_buffer
      - .offset:         96
        .size:           8
        .value_kind:     by_value
      - .offset:         104
        .size:           4
        .value_kind:     by_value
      - .offset:         108
        .size:           4
        .value_kind:     by_value
      - .offset:         112
        .size:           1
        .value_kind:     by_value
    .group_segment_fixed_size: 8192
    .kernarg_segment_align: 8
    .kernarg_segment_size: 116
    .language:       OpenCL C
    .language_version:
      - 2
      - 0
    .max_flat_workgroup_size: 1024
    .name:           _ZN9rocsparseL30bellmm_general_blockdim_kernelILi32ELi32EiiiiiEEv20rocsparse_operation_S1_20rocsparse_direction_T2_S3_NS_24const_host_device_scalarIT1_EES3_S3_PKS3_PKT3_PKT4_l16rocsparse_order_S6_PT5_lSF_21rocsparse_index_base_b
    .private_segment_fixed_size: 0
    .sgpr_count:     40
    .sgpr_spill_count: 0
    .symbol:         _ZN9rocsparseL30bellmm_general_blockdim_kernelILi32ELi32EiiiiiEEv20rocsparse_operation_S1_20rocsparse_direction_T2_S3_NS_24const_host_device_scalarIT1_EES3_S3_PKS3_PKT3_PKT4_l16rocsparse_order_S6_PT5_lSF_21rocsparse_index_base_b.kd
    .uniform_work_group_size: 1
    .uses_dynamic_stack: false
    .vgpr_count:     74
    .vgpr_spill_count: 0
    .wavefront_size: 32
    .workgroup_processor_mode: 1
  - .args:
      - .offset:         0
        .size:           4
        .value_kind:     by_value
      - .offset:         4
        .size:           4
        .value_kind:     by_value
      - .offset:         8
        .size:           4
        .value_kind:     by_value
      - .offset:         16
        .size:           8
        .value_kind:     by_value
      - .offset:         24
        .size:           8
        .value_kind:     by_value
      - .offset:         32
        .size:           8
        .value_kind:     by_value
      - .offset:         40
        .size:           8
        .value_kind:     by_value
      - .offset:         48
        .size:           8
        .value_kind:     by_value
      - .actual_access:  read_only
        .address_space:  global
        .offset:         56
        .size:           8
        .value_kind:     global_buffer
      - .actual_access:  read_only
        .address_space:  global
        .offset:         64
        .size:           8
        .value_kind:     global_buffer
      - .actual_access:  read_only
        .address_space:  global
        .offset:         72
        .size:           8
        .value_kind:     global_buffer
      - .offset:         80
        .size:           8
        .value_kind:     by_value
      - .offset:         88
        .size:           4
        .value_kind:     by_value
      - .offset:         96
        .size:           8
        .value_kind:     by_value
      - .address_space:  global
        .offset:         104
        .size:           8
        .value_kind:     global_buffer
      - .offset:         112
        .size:           8
        .value_kind:     by_value
      - .offset:         120
        .size:           4
        .value_kind:     by_value
      - .offset:         124
        .size:           4
        .value_kind:     by_value
      - .offset:         128
        .size:           1
        .value_kind:     by_value
    .group_segment_fixed_size: 8192
    .kernarg_segment_align: 8
    .kernarg_segment_size: 132
    .language:       OpenCL C
    .language_version:
      - 2
      - 0
    .max_flat_workgroup_size: 1024
    .name:           _ZN9rocsparseL30bellmm_general_blockdim_kernelILi32ELi32EiliiiEEv20rocsparse_operation_S1_20rocsparse_direction_T2_S3_NS_24const_host_device_scalarIT1_EES3_S3_PKS3_PKT3_PKT4_l16rocsparse_order_S6_PT5_lSF_21rocsparse_index_base_b
    .private_segment_fixed_size: 0
    .sgpr_count:     54
    .sgpr_spill_count: 0
    .symbol:         _ZN9rocsparseL30bellmm_general_blockdim_kernelILi32ELi32EiliiiEEv20rocsparse_operation_S1_20rocsparse_direction_T2_S3_NS_24const_host_device_scalarIT1_EES3_S3_PKS3_PKT3_PKT4_l16rocsparse_order_S6_PT5_lSF_21rocsparse_index_base_b.kd
    .uniform_work_group_size: 1
    .uses_dynamic_stack: false
    .vgpr_count:     81
    .vgpr_spill_count: 0
    .wavefront_size: 32
    .workgroup_processor_mode: 1
  - .args:
      - .offset:         0
        .size:           4
        .value_kind:     by_value
      - .offset:         4
        .size:           4
        .value_kind:     by_value
      - .offset:         8
        .size:           4
        .value_kind:     by_value
      - .offset:         12
        .size:           4
        .value_kind:     by_value
      - .offset:         16
        .size:           4
        .value_kind:     by_value
      - .offset:         24
        .size:           8
        .value_kind:     by_value
      - .offset:         32
        .size:           4
        .value_kind:     by_value
      - .offset:         36
        .size:           4
        .value_kind:     by_value
      - .actual_access:  read_only
        .address_space:  global
        .offset:         40
        .size:           8
        .value_kind:     global_buffer
      - .actual_access:  read_only
        .address_space:  global
        .offset:         48
        .size:           8
        .value_kind:     global_buffer
      - .actual_access:  read_only
        .address_space:  global
        .offset:         56
        .size:           8
        .value_kind:     global_buffer
      - .offset:         64
        .size:           8
        .value_kind:     by_value
      - .offset:         72
        .size:           4
        .value_kind:     by_value
      - .offset:         80
        .size:           8
        .value_kind:     by_value
      - .address_space:  global
        .offset:         88
        .size:           8
        .value_kind:     global_buffer
      - .offset:         96
        .size:           8
        .value_kind:     by_value
      - .offset:         104
        .size:           4
        .value_kind:     by_value
      - .offset:         108
        .size:           4
        .value_kind:     by_value
      - .offset:         112
        .size:           1
        .value_kind:     by_value
    .group_segment_fixed_size: 8192
    .kernarg_segment_align: 8
    .kernarg_segment_size: 116
    .language:       OpenCL C
    .language_version:
      - 2
      - 0
    .max_flat_workgroup_size: 1024
    .name:           _ZN9rocsparseL30bellmm_general_blockdim_kernelILi32ELi32EfifffEEv20rocsparse_operation_S1_20rocsparse_direction_T2_S3_NS_24const_host_device_scalarIT1_EES3_S3_PKS3_PKT3_PKT4_l16rocsparse_order_S6_PT5_lSF_21rocsparse_index_base_b
    .private_segment_fixed_size: 0
    .sgpr_count:     40
    .sgpr_spill_count: 0
    .symbol:         _ZN9rocsparseL30bellmm_general_blockdim_kernelILi32ELi32EfifffEEv20rocsparse_operation_S1_20rocsparse_direction_T2_S3_NS_24const_host_device_scalarIT1_EES3_S3_PKS3_PKT3_PKT4_l16rocsparse_order_S6_PT5_lSF_21rocsparse_index_base_b.kd
    .uniform_work_group_size: 1
    .uses_dynamic_stack: false
    .vgpr_count:     38
    .vgpr_spill_count: 0
    .wavefront_size: 32
    .workgroup_processor_mode: 1
  - .args:
      - .offset:         0
        .size:           4
        .value_kind:     by_value
      - .offset:         4
        .size:           4
        .value_kind:     by_value
      - .offset:         8
        .size:           4
        .value_kind:     by_value
      - .offset:         16
        .size:           8
        .value_kind:     by_value
      - .offset:         24
        .size:           8
        .value_kind:     by_value
      - .offset:         32
        .size:           8
        .value_kind:     by_value
      - .offset:         40
        .size:           8
        .value_kind:     by_value
      - .offset:         48
        .size:           8
        .value_kind:     by_value
      - .actual_access:  read_only
        .address_space:  global
        .offset:         56
        .size:           8
        .value_kind:     global_buffer
      - .actual_access:  read_only
        .address_space:  global
        .offset:         64
        .size:           8
        .value_kind:     global_buffer
      - .actual_access:  read_only
        .address_space:  global
        .offset:         72
        .size:           8
        .value_kind:     global_buffer
      - .offset:         80
        .size:           8
        .value_kind:     by_value
      - .offset:         88
        .size:           4
        .value_kind:     by_value
      - .offset:         96
        .size:           8
        .value_kind:     by_value
      - .address_space:  global
        .offset:         104
        .size:           8
        .value_kind:     global_buffer
      - .offset:         112
        .size:           8
        .value_kind:     by_value
      - .offset:         120
        .size:           4
        .value_kind:     by_value
      - .offset:         124
        .size:           4
        .value_kind:     by_value
      - .offset:         128
        .size:           1
        .value_kind:     by_value
    .group_segment_fixed_size: 8192
    .kernarg_segment_align: 8
    .kernarg_segment_size: 132
    .language:       OpenCL C
    .language_version:
      - 2
      - 0
    .max_flat_workgroup_size: 1024
    .name:           _ZN9rocsparseL30bellmm_general_blockdim_kernelILi32ELi32EflfffEEv20rocsparse_operation_S1_20rocsparse_direction_T2_S3_NS_24const_host_device_scalarIT1_EES3_S3_PKS3_PKT3_PKT4_l16rocsparse_order_S6_PT5_lSF_21rocsparse_index_base_b
    .private_segment_fixed_size: 0
    .sgpr_count:     54
    .sgpr_spill_count: 0
    .symbol:         _ZN9rocsparseL30bellmm_general_blockdim_kernelILi32ELi32EflfffEEv20rocsparse_operation_S1_20rocsparse_direction_T2_S3_NS_24const_host_device_scalarIT1_EES3_S3_PKS3_PKT3_PKT4_l16rocsparse_order_S6_PT5_lSF_21rocsparse_index_base_b.kd
    .uniform_work_group_size: 1
    .uses_dynamic_stack: false
    .vgpr_count:     44
    .vgpr_spill_count: 0
    .wavefront_size: 32
    .workgroup_processor_mode: 1
  - .args:
      - .offset:         0
        .size:           4
        .value_kind:     by_value
      - .offset:         4
        .size:           4
        .value_kind:     by_value
      - .offset:         8
        .size:           4
        .value_kind:     by_value
      - .offset:         12
        .size:           4
        .value_kind:     by_value
      - .offset:         16
        .size:           4
        .value_kind:     by_value
      - .offset:         24
        .size:           8
        .value_kind:     by_value
      - .offset:         32
        .size:           4
        .value_kind:     by_value
      - .offset:         36
        .size:           4
        .value_kind:     by_value
      - .actual_access:  read_only
        .address_space:  global
        .offset:         40
        .size:           8
        .value_kind:     global_buffer
      - .actual_access:  read_only
        .address_space:  global
        .offset:         48
        .size:           8
        .value_kind:     global_buffer
      - .actual_access:  read_only
        .address_space:  global
        .offset:         56
        .size:           8
        .value_kind:     global_buffer
      - .offset:         64
        .size:           8
        .value_kind:     by_value
      - .offset:         72
        .size:           4
        .value_kind:     by_value
      - .offset:         80
        .size:           8
        .value_kind:     by_value
      - .address_space:  global
        .offset:         88
        .size:           8
        .value_kind:     global_buffer
      - .offset:         96
        .size:           8
        .value_kind:     by_value
      - .offset:         104
        .size:           4
        .value_kind:     by_value
      - .offset:         108
        .size:           4
        .value_kind:     by_value
      - .offset:         112
        .size:           1
        .value_kind:     by_value
    .group_segment_fixed_size: 16384
    .kernarg_segment_align: 8
    .kernarg_segment_size: 116
    .language:       OpenCL C
    .language_version:
      - 2
      - 0
    .max_flat_workgroup_size: 1024
    .name:           _ZN9rocsparseL30bellmm_general_blockdim_kernelILi32ELi32EdidddEEv20rocsparse_operation_S1_20rocsparse_direction_T2_S3_NS_24const_host_device_scalarIT1_EES3_S3_PKS3_PKT3_PKT4_l16rocsparse_order_S6_PT5_lSF_21rocsparse_index_base_b
    .private_segment_fixed_size: 0
    .sgpr_count:     39
    .sgpr_spill_count: 0
    .symbol:         _ZN9rocsparseL30bellmm_general_blockdim_kernelILi32ELi32EdidddEEv20rocsparse_operation_S1_20rocsparse_direction_T2_S3_NS_24const_host_device_scalarIT1_EES3_S3_PKS3_PKT3_PKT4_l16rocsparse_order_S6_PT5_lSF_21rocsparse_index_base_b.kd
    .uniform_work_group_size: 1
    .uses_dynamic_stack: false
    .vgpr_count:     42
    .vgpr_spill_count: 0
    .wavefront_size: 32
    .workgroup_processor_mode: 1
  - .args:
      - .offset:         0
        .size:           4
        .value_kind:     by_value
      - .offset:         4
        .size:           4
        .value_kind:     by_value
      - .offset:         8
        .size:           4
        .value_kind:     by_value
      - .offset:         16
        .size:           8
        .value_kind:     by_value
      - .offset:         24
        .size:           8
        .value_kind:     by_value
      - .offset:         32
        .size:           8
        .value_kind:     by_value
      - .offset:         40
        .size:           8
        .value_kind:     by_value
      - .offset:         48
        .size:           8
        .value_kind:     by_value
      - .actual_access:  read_only
        .address_space:  global
        .offset:         56
        .size:           8
        .value_kind:     global_buffer
      - .actual_access:  read_only
        .address_space:  global
        .offset:         64
        .size:           8
        .value_kind:     global_buffer
      - .actual_access:  read_only
        .address_space:  global
        .offset:         72
        .size:           8
        .value_kind:     global_buffer
      - .offset:         80
        .size:           8
        .value_kind:     by_value
      - .offset:         88
        .size:           4
        .value_kind:     by_value
      - .offset:         96
        .size:           8
        .value_kind:     by_value
      - .address_space:  global
        .offset:         104
        .size:           8
        .value_kind:     global_buffer
      - .offset:         112
        .size:           8
        .value_kind:     by_value
      - .offset:         120
        .size:           4
        .value_kind:     by_value
      - .offset:         124
        .size:           4
        .value_kind:     by_value
      - .offset:         128
        .size:           1
        .value_kind:     by_value
    .group_segment_fixed_size: 16384
    .kernarg_segment_align: 8
    .kernarg_segment_size: 132
    .language:       OpenCL C
    .language_version:
      - 2
      - 0
    .max_flat_workgroup_size: 1024
    .name:           _ZN9rocsparseL30bellmm_general_blockdim_kernelILi32ELi32EdldddEEv20rocsparse_operation_S1_20rocsparse_direction_T2_S3_NS_24const_host_device_scalarIT1_EES3_S3_PKS3_PKT3_PKT4_l16rocsparse_order_S6_PT5_lSF_21rocsparse_index_base_b
    .private_segment_fixed_size: 0
    .sgpr_count:     53
    .sgpr_spill_count: 0
    .symbol:         _ZN9rocsparseL30bellmm_general_blockdim_kernelILi32ELi32EdldddEEv20rocsparse_operation_S1_20rocsparse_direction_T2_S3_NS_24const_host_device_scalarIT1_EES3_S3_PKS3_PKT3_PKT4_l16rocsparse_order_S6_PT5_lSF_21rocsparse_index_base_b.kd
    .uniform_work_group_size: 1
    .uses_dynamic_stack: false
    .vgpr_count:     48
    .vgpr_spill_count: 0
    .wavefront_size: 32
    .workgroup_processor_mode: 1
  - .args:
      - .offset:         0
        .size:           4
        .value_kind:     by_value
      - .offset:         4
        .size:           4
        .value_kind:     by_value
      - .offset:         8
        .size:           4
        .value_kind:     by_value
      - .offset:         12
        .size:           4
        .value_kind:     by_value
      - .offset:         16
        .size:           4
        .value_kind:     by_value
      - .offset:         24
        .size:           8
        .value_kind:     by_value
      - .offset:         32
        .size:           4
        .value_kind:     by_value
      - .offset:         36
        .size:           4
        .value_kind:     by_value
      - .actual_access:  read_only
        .address_space:  global
        .offset:         40
        .size:           8
        .value_kind:     global_buffer
      - .actual_access:  read_only
        .address_space:  global
        .offset:         48
        .size:           8
        .value_kind:     global_buffer
      - .actual_access:  read_only
        .address_space:  global
        .offset:         56
        .size:           8
        .value_kind:     global_buffer
      - .offset:         64
        .size:           8
        .value_kind:     by_value
      - .offset:         72
        .size:           4
        .value_kind:     by_value
      - .offset:         80
        .size:           8
        .value_kind:     by_value
      - .address_space:  global
        .offset:         88
        .size:           8
        .value_kind:     global_buffer
      - .offset:         96
        .size:           8
        .value_kind:     by_value
      - .offset:         104
        .size:           4
        .value_kind:     by_value
      - .offset:         108
        .size:           4
        .value_kind:     by_value
      - .offset:         112
        .size:           1
        .value_kind:     by_value
    .group_segment_fixed_size: 16384
    .kernarg_segment_align: 8
    .kernarg_segment_size: 116
    .language:       OpenCL C
    .language_version:
      - 2
      - 0
    .max_flat_workgroup_size: 1024
    .name:           _ZN9rocsparseL30bellmm_general_blockdim_kernelILi32ELi32E21rocsparse_complex_numIfEiS2_S2_S2_EEv20rocsparse_operation_S3_20rocsparse_direction_T2_S5_NS_24const_host_device_scalarIT1_EES5_S5_PKS5_PKT3_PKT4_l16rocsparse_order_S8_PT5_lSH_21rocsparse_index_base_b
    .private_segment_fixed_size: 0
    .sgpr_count:     40
    .sgpr_spill_count: 0
    .symbol:         _ZN9rocsparseL30bellmm_general_blockdim_kernelILi32ELi32E21rocsparse_complex_numIfEiS2_S2_S2_EEv20rocsparse_operation_S3_20rocsparse_direction_T2_S5_NS_24const_host_device_scalarIT1_EES5_S5_PKS5_PKT3_PKT4_l16rocsparse_order_S8_PT5_lSH_21rocsparse_index_base_b.kd
    .uniform_work_group_size: 1
    .uses_dynamic_stack: false
    .vgpr_count:     44
    .vgpr_spill_count: 0
    .wavefront_size: 32
    .workgroup_processor_mode: 1
  - .args:
      - .offset:         0
        .size:           4
        .value_kind:     by_value
      - .offset:         4
        .size:           4
        .value_kind:     by_value
      - .offset:         8
        .size:           4
        .value_kind:     by_value
      - .offset:         16
        .size:           8
        .value_kind:     by_value
      - .offset:         24
        .size:           8
        .value_kind:     by_value
      - .offset:         32
        .size:           8
        .value_kind:     by_value
      - .offset:         40
        .size:           8
        .value_kind:     by_value
      - .offset:         48
        .size:           8
        .value_kind:     by_value
      - .actual_access:  read_only
        .address_space:  global
        .offset:         56
        .size:           8
        .value_kind:     global_buffer
      - .actual_access:  read_only
        .address_space:  global
        .offset:         64
        .size:           8
        .value_kind:     global_buffer
      - .actual_access:  read_only
        .address_space:  global
        .offset:         72
        .size:           8
        .value_kind:     global_buffer
      - .offset:         80
        .size:           8
        .value_kind:     by_value
      - .offset:         88
        .size:           4
        .value_kind:     by_value
      - .offset:         96
        .size:           8
        .value_kind:     by_value
      - .address_space:  global
        .offset:         104
        .size:           8
        .value_kind:     global_buffer
      - .offset:         112
        .size:           8
        .value_kind:     by_value
      - .offset:         120
        .size:           4
        .value_kind:     by_value
      - .offset:         124
        .size:           4
        .value_kind:     by_value
      - .offset:         128
        .size:           1
        .value_kind:     by_value
    .group_segment_fixed_size: 16384
    .kernarg_segment_align: 8
    .kernarg_segment_size: 132
    .language:       OpenCL C
    .language_version:
      - 2
      - 0
    .max_flat_workgroup_size: 1024
    .name:           _ZN9rocsparseL30bellmm_general_blockdim_kernelILi32ELi32E21rocsparse_complex_numIfElS2_S2_S2_EEv20rocsparse_operation_S3_20rocsparse_direction_T2_S5_NS_24const_host_device_scalarIT1_EES5_S5_PKS5_PKT3_PKT4_l16rocsparse_order_S8_PT5_lSH_21rocsparse_index_base_b
    .private_segment_fixed_size: 0
    .sgpr_count:     50
    .sgpr_spill_count: 0
    .symbol:         _ZN9rocsparseL30bellmm_general_blockdim_kernelILi32ELi32E21rocsparse_complex_numIfElS2_S2_S2_EEv20rocsparse_operation_S3_20rocsparse_direction_T2_S5_NS_24const_host_device_scalarIT1_EES5_S5_PKS5_PKT3_PKT4_l16rocsparse_order_S8_PT5_lSH_21rocsparse_index_base_b.kd
    .uniform_work_group_size: 1
    .uses_dynamic_stack: false
    .vgpr_count:     56
    .vgpr_spill_count: 0
    .wavefront_size: 32
    .workgroup_processor_mode: 1
  - .args:
      - .offset:         0
        .size:           4
        .value_kind:     by_value
      - .offset:         4
        .size:           4
        .value_kind:     by_value
      - .offset:         8
        .size:           4
        .value_kind:     by_value
      - .offset:         12
        .size:           4
        .value_kind:     by_value
      - .offset:         16
        .size:           4
        .value_kind:     by_value
      - .offset:         24
        .size:           16
        .value_kind:     by_value
      - .offset:         40
        .size:           4
        .value_kind:     by_value
      - .offset:         44
        .size:           4
        .value_kind:     by_value
      - .actual_access:  read_only
        .address_space:  global
        .offset:         48
        .size:           8
        .value_kind:     global_buffer
      - .actual_access:  read_only
        .address_space:  global
        .offset:         56
        .size:           8
        .value_kind:     global_buffer
      - .actual_access:  read_only
        .address_space:  global
        .offset:         64
        .size:           8
        .value_kind:     global_buffer
      - .offset:         72
        .size:           8
        .value_kind:     by_value
      - .offset:         80
        .size:           4
        .value_kind:     by_value
      - .offset:         88
        .size:           16
        .value_kind:     by_value
      - .address_space:  global
        .offset:         104
        .size:           8
        .value_kind:     global_buffer
      - .offset:         112
        .size:           8
        .value_kind:     by_value
      - .offset:         120
        .size:           4
        .value_kind:     by_value
      - .offset:         124
        .size:           4
        .value_kind:     by_value
      - .offset:         128
        .size:           1
        .value_kind:     by_value
    .group_segment_fixed_size: 49152
    .kernarg_segment_align: 8
    .kernarg_segment_size: 132
    .language:       OpenCL C
    .language_version:
      - 2
      - 0
    .max_flat_workgroup_size: 1024
    .name:           _ZN9rocsparseL30bellmm_general_blockdim_kernelILi32ELi32E21rocsparse_complex_numIdEiS2_S2_S2_EEv20rocsparse_operation_S3_20rocsparse_direction_T2_S5_NS_24const_host_device_scalarIT1_EES5_S5_PKS5_PKT3_PKT4_l16rocsparse_order_S8_PT5_lSH_21rocsparse_index_base_b
    .private_segment_fixed_size: 0
    .sgpr_count:     41
    .sgpr_spill_count: 0
    .symbol:         _ZN9rocsparseL30bellmm_general_blockdim_kernelILi32ELi32E21rocsparse_complex_numIdEiS2_S2_S2_EEv20rocsparse_operation_S3_20rocsparse_direction_T2_S5_NS_24const_host_device_scalarIT1_EES5_S5_PKS5_PKT3_PKT4_l16rocsparse_order_S8_PT5_lSH_21rocsparse_index_base_b.kd
    .uniform_work_group_size: 1
    .uses_dynamic_stack: false
    .vgpr_count:     53
    .vgpr_spill_count: 0
    .wavefront_size: 32
    .workgroup_processor_mode: 1
  - .args:
      - .offset:         0
        .size:           4
        .value_kind:     by_value
      - .offset:         4
        .size:           4
        .value_kind:     by_value
      - .offset:         8
        .size:           4
        .value_kind:     by_value
      - .offset:         16
        .size:           8
        .value_kind:     by_value
      - .offset:         24
        .size:           8
        .value_kind:     by_value
      - .offset:         32
        .size:           16
        .value_kind:     by_value
      - .offset:         48
        .size:           8
        .value_kind:     by_value
      - .offset:         56
        .size:           8
        .value_kind:     by_value
      - .actual_access:  read_only
        .address_space:  global
        .offset:         64
        .size:           8
        .value_kind:     global_buffer
      - .actual_access:  read_only
        .address_space:  global
        .offset:         72
        .size:           8
        .value_kind:     global_buffer
      - .actual_access:  read_only
        .address_space:  global
        .offset:         80
        .size:           8
        .value_kind:     global_buffer
      - .offset:         88
        .size:           8
        .value_kind:     by_value
      - .offset:         96
        .size:           4
        .value_kind:     by_value
      - .offset:         104
        .size:           16
        .value_kind:     by_value
      - .address_space:  global
        .offset:         120
        .size:           8
        .value_kind:     global_buffer
      - .offset:         128
        .size:           8
        .value_kind:     by_value
      - .offset:         136
        .size:           4
        .value_kind:     by_value
      - .offset:         140
        .size:           4
        .value_kind:     by_value
      - .offset:         144
        .size:           1
        .value_kind:     by_value
    .group_segment_fixed_size: 49152
    .kernarg_segment_align: 8
    .kernarg_segment_size: 148
    .language:       OpenCL C
    .language_version:
      - 2
      - 0
    .max_flat_workgroup_size: 1024
    .name:           _ZN9rocsparseL30bellmm_general_blockdim_kernelILi32ELi32E21rocsparse_complex_numIdElS2_S2_S2_EEv20rocsparse_operation_S3_20rocsparse_direction_T2_S5_NS_24const_host_device_scalarIT1_EES5_S5_PKS5_PKT3_PKT4_l16rocsparse_order_S8_PT5_lSH_21rocsparse_index_base_b
    .private_segment_fixed_size: 0
    .sgpr_count:     50
    .sgpr_spill_count: 0
    .symbol:         _ZN9rocsparseL30bellmm_general_blockdim_kernelILi32ELi32E21rocsparse_complex_numIdElS2_S2_S2_EEv20rocsparse_operation_S3_20rocsparse_direction_T2_S5_NS_24const_host_device_scalarIT1_EES5_S5_PKS5_PKT3_PKT4_l16rocsparse_order_S8_PT5_lSH_21rocsparse_index_base_b.kd
    .uniform_work_group_size: 1
    .uses_dynamic_stack: false
    .vgpr_count:     64
    .vgpr_spill_count: 0
    .wavefront_size: 32
    .workgroup_processor_mode: 1
amdhsa.target:   amdgcn-amd-amdhsa--gfx1100
amdhsa.version:
  - 1
  - 2
...

	.end_amdgpu_metadata
